;; amdgpu-corpus repo=ROCm/rocFFT kind=compiled arch=gfx950 opt=O3
	.text
	.amdgcn_target "amdgcn-amd-amdhsa--gfx950"
	.amdhsa_code_object_version 6
	.protected	fft_rtc_back_len1155_factors_11_5_7_3_wgs_55_tpt_55_halfLds_sp_op_CI_CI_sbrr_dirReg ; -- Begin function fft_rtc_back_len1155_factors_11_5_7_3_wgs_55_tpt_55_halfLds_sp_op_CI_CI_sbrr_dirReg
	.globl	fft_rtc_back_len1155_factors_11_5_7_3_wgs_55_tpt_55_halfLds_sp_op_CI_CI_sbrr_dirReg
	.p2align	8
	.type	fft_rtc_back_len1155_factors_11_5_7_3_wgs_55_tpt_55_halfLds_sp_op_CI_CI_sbrr_dirReg,@function
fft_rtc_back_len1155_factors_11_5_7_3_wgs_55_tpt_55_halfLds_sp_op_CI_CI_sbrr_dirReg: ; @fft_rtc_back_len1155_factors_11_5_7_3_wgs_55_tpt_55_halfLds_sp_op_CI_CI_sbrr_dirReg
; %bb.0:
	s_load_dwordx4 s[12:15], s[0:1], 0x18
	s_load_dwordx4 s[4:7], s[0:1], 0x0
	;; [unrolled: 1-line block ×3, first 2 shown]
	v_mul_u32_u24_e32 v1, 0x4a8, v0
	v_add_u32_sdwa v8, s2, v1 dst_sel:DWORD dst_unused:UNUSED_PAD src0_sel:DWORD src1_sel:WORD_1
	s_waitcnt lgkmcnt(0)
	s_load_dwordx2 s[18:19], s[12:13], 0x0
	s_load_dwordx2 s[16:17], s[14:15], 0x0
	v_mov_b32_e32 v6, 0
	v_cmp_lt_u64_e64 s[2:3], s[6:7], 2
	v_mov_b32_e32 v9, v6
	s_and_b64 vcc, exec, s[2:3]
	v_mov_b64_e32 v[48:49], 0
	s_cbranch_vccnz .LBB0_8
; %bb.1:
	s_load_dwordx2 s[2:3], s[0:1], 0x10
	s_add_u32 s20, s14, 8
	s_addc_u32 s21, s15, 0
	s_add_u32 s22, s12, 8
	s_addc_u32 s23, s13, 0
	s_waitcnt lgkmcnt(0)
	s_add_u32 s24, s2, 8
	v_mov_b64_e32 v[48:49], 0
	s_addc_u32 s25, s3, 0
	s_mov_b64 s[26:27], 1
	v_mov_b64_e32 v[2:3], v[48:49]
.LBB0_2:                                ; =>This Inner Loop Header: Depth=1
	s_load_dwordx2 s[28:29], s[24:25], 0x0
                                        ; implicit-def: $vgpr4_vgpr5
	s_waitcnt lgkmcnt(0)
	v_or_b32_e32 v7, s29, v9
	v_cmp_ne_u64_e32 vcc, 0, v[6:7]
	s_and_saveexec_b64 s[2:3], vcc
	s_xor_b64 s[30:31], exec, s[2:3]
	s_cbranch_execz .LBB0_4
; %bb.3:                                ;   in Loop: Header=BB0_2 Depth=1
	v_cvt_f32_u32_e32 v1, s28
	v_cvt_f32_u32_e32 v4, s29
	s_sub_u32 s2, 0, s28
	s_subb_u32 s3, 0, s29
	v_fmac_f32_e32 v1, 0x4f800000, v4
	v_rcp_f32_e32 v1, v1
	s_nop 0
	v_mul_f32_e32 v1, 0x5f7ffffc, v1
	v_mul_f32_e32 v4, 0x2f800000, v1
	v_trunc_f32_e32 v4, v4
	v_fmac_f32_e32 v1, 0xcf800000, v4
	v_cvt_u32_f32_e32 v7, v4
	v_cvt_u32_f32_e32 v1, v1
	v_mul_lo_u32 v4, s2, v7
	v_mul_hi_u32 v10, s2, v1
	v_mul_lo_u32 v5, s3, v1
	v_add_u32_e32 v10, v10, v4
	v_mul_lo_u32 v12, s2, v1
	v_add_u32_e32 v13, v10, v5
	v_mul_hi_u32 v4, v1, v12
	v_mul_hi_u32 v11, v1, v13
	v_mul_lo_u32 v10, v1, v13
	v_mov_b32_e32 v5, v6
	v_lshl_add_u64 v[4:5], v[4:5], 0, v[10:11]
	v_mul_hi_u32 v11, v7, v12
	v_mul_lo_u32 v12, v7, v12
	v_add_co_u32_e32 v4, vcc, v4, v12
	v_mul_hi_u32 v10, v7, v13
	s_nop 0
	v_addc_co_u32_e32 v4, vcc, v5, v11, vcc
	v_mov_b32_e32 v5, v6
	s_nop 0
	v_addc_co_u32_e32 v11, vcc, 0, v10, vcc
	v_mul_lo_u32 v10, v7, v13
	v_lshl_add_u64 v[4:5], v[4:5], 0, v[10:11]
	v_add_co_u32_e32 v1, vcc, v1, v4
	v_mul_lo_u32 v10, s2, v1
	s_nop 0
	v_addc_co_u32_e32 v7, vcc, v7, v5, vcc
	v_mul_lo_u32 v4, s2, v7
	v_mul_hi_u32 v5, s2, v1
	v_add_u32_e32 v4, v5, v4
	v_mul_lo_u32 v5, s3, v1
	v_add_u32_e32 v12, v4, v5
	v_mul_hi_u32 v14, v7, v10
	v_mul_lo_u32 v15, v7, v10
	v_mul_hi_u32 v5, v1, v12
	v_mul_lo_u32 v4, v1, v12
	v_mul_hi_u32 v10, v1, v10
	v_mov_b32_e32 v11, v6
	v_lshl_add_u64 v[4:5], v[10:11], 0, v[4:5]
	v_add_co_u32_e32 v4, vcc, v4, v15
	v_mul_hi_u32 v13, v7, v12
	s_nop 0
	v_addc_co_u32_e32 v4, vcc, v5, v14, vcc
	v_mul_lo_u32 v10, v7, v12
	s_nop 0
	v_addc_co_u32_e32 v11, vcc, 0, v13, vcc
	v_mov_b32_e32 v5, v6
	v_lshl_add_u64 v[4:5], v[4:5], 0, v[10:11]
	v_add_co_u32_e32 v1, vcc, v1, v4
	v_mul_hi_u32 v10, v8, v1
	s_nop 0
	v_addc_co_u32_e32 v7, vcc, v7, v5, vcc
	v_mad_u64_u32 v[4:5], s[2:3], v8, v7, 0
	v_mov_b32_e32 v11, v6
	v_lshl_add_u64 v[4:5], v[10:11], 0, v[4:5]
	v_mad_u64_u32 v[12:13], s[2:3], v9, v1, 0
	v_add_co_u32_e32 v1, vcc, v4, v12
	v_mad_u64_u32 v[10:11], s[2:3], v9, v7, 0
	s_nop 0
	v_addc_co_u32_e32 v4, vcc, v5, v13, vcc
	v_mov_b32_e32 v5, v6
	s_nop 0
	v_addc_co_u32_e32 v11, vcc, 0, v11, vcc
	v_lshl_add_u64 v[4:5], v[4:5], 0, v[10:11]
	v_mul_lo_u32 v1, s29, v4
	v_mul_lo_u32 v7, s28, v5
	v_mad_u64_u32 v[10:11], s[2:3], s28, v4, 0
	v_add3_u32 v1, v11, v7, v1
	v_sub_u32_e32 v7, v9, v1
	v_mov_b32_e32 v11, s29
	v_sub_co_u32_e32 v14, vcc, v8, v10
	v_lshl_add_u64 v[12:13], v[4:5], 0, 1
	s_nop 0
	v_subb_co_u32_e64 v7, s[2:3], v7, v11, vcc
	v_subrev_co_u32_e64 v10, s[2:3], s28, v14
	v_subb_co_u32_e32 v1, vcc, v9, v1, vcc
	s_nop 0
	v_subbrev_co_u32_e64 v7, s[2:3], 0, v7, s[2:3]
	v_cmp_le_u32_e64 s[2:3], s29, v7
	v_cmp_le_u32_e32 vcc, s29, v1
	s_nop 0
	v_cndmask_b32_e64 v11, 0, -1, s[2:3]
	v_cmp_le_u32_e64 s[2:3], s28, v10
	s_nop 1
	v_cndmask_b32_e64 v10, 0, -1, s[2:3]
	v_cmp_eq_u32_e64 s[2:3], s29, v7
	s_nop 1
	v_cndmask_b32_e64 v7, v11, v10, s[2:3]
	v_lshl_add_u64 v[10:11], v[4:5], 0, 2
	v_cmp_ne_u32_e64 s[2:3], 0, v7
	s_nop 1
	v_cndmask_b32_e64 v7, v13, v11, s[2:3]
	v_cndmask_b32_e64 v11, 0, -1, vcc
	v_cmp_le_u32_e32 vcc, s28, v14
	s_nop 1
	v_cndmask_b32_e64 v13, 0, -1, vcc
	v_cmp_eq_u32_e32 vcc, s29, v1
	s_nop 1
	v_cndmask_b32_e32 v1, v11, v13, vcc
	v_cmp_ne_u32_e32 vcc, 0, v1
	v_cndmask_b32_e64 v1, v12, v10, s[2:3]
	s_nop 0
	v_cndmask_b32_e32 v5, v5, v7, vcc
	v_cndmask_b32_e32 v4, v4, v1, vcc
.LBB0_4:                                ;   in Loop: Header=BB0_2 Depth=1
	s_andn2_saveexec_b64 s[2:3], s[30:31]
	s_cbranch_execz .LBB0_6
; %bb.5:                                ;   in Loop: Header=BB0_2 Depth=1
	v_cvt_f32_u32_e32 v1, s28
	s_sub_i32 s30, 0, s28
	v_rcp_iflag_f32_e32 v1, v1
	s_nop 0
	v_mul_f32_e32 v1, 0x4f7ffffe, v1
	v_cvt_u32_f32_e32 v1, v1
	v_mul_lo_u32 v4, s30, v1
	v_mul_hi_u32 v4, v1, v4
	v_add_u32_e32 v1, v1, v4
	v_mul_hi_u32 v1, v8, v1
	v_mul_lo_u32 v4, v1, s28
	v_sub_u32_e32 v4, v8, v4
	v_add_u32_e32 v5, 1, v1
	v_subrev_u32_e32 v7, s28, v4
	v_cmp_le_u32_e32 vcc, s28, v4
	s_nop 1
	v_cndmask_b32_e32 v4, v4, v7, vcc
	v_cndmask_b32_e32 v1, v1, v5, vcc
	v_add_u32_e32 v5, 1, v1
	v_cmp_le_u32_e32 vcc, s28, v4
	s_nop 1
	v_cndmask_b32_e32 v4, v1, v5, vcc
	v_mov_b32_e32 v5, v6
.LBB0_6:                                ;   in Loop: Header=BB0_2 Depth=1
	s_or_b64 exec, exec, s[2:3]
	v_mad_u64_u32 v[10:11], s[2:3], v4, s28, 0
	s_load_dwordx2 s[2:3], s[22:23], 0x0
	v_mul_lo_u32 v1, v5, s28
	v_mul_lo_u32 v7, v4, s29
	s_load_dwordx2 s[28:29], s[20:21], 0x0
	s_add_u32 s26, s26, 1
	v_add3_u32 v1, v11, v7, v1
	v_sub_co_u32_e32 v7, vcc, v8, v10
	s_addc_u32 s27, s27, 0
	s_nop 0
	v_subb_co_u32_e32 v1, vcc, v9, v1, vcc
	s_add_u32 s20, s20, 8
	s_waitcnt lgkmcnt(0)
	v_mul_lo_u32 v8, s2, v1
	v_mul_lo_u32 v9, s3, v7
	v_mad_u64_u32 v[48:49], s[2:3], s2, v7, v[48:49]
	s_addc_u32 s21, s21, 0
	v_add3_u32 v49, v9, v49, v8
	v_mul_lo_u32 v1, s28, v1
	v_mul_lo_u32 v8, s29, v7
	v_mad_u64_u32 v[2:3], s[2:3], s28, v7, v[2:3]
	s_add_u32 s22, s22, 8
	v_add3_u32 v3, v8, v3, v1
	s_addc_u32 s23, s23, 0
	v_mov_b64_e32 v[8:9], s[6:7]
	s_add_u32 s24, s24, 8
	v_cmp_ge_u64_e32 vcc, s[26:27], v[8:9]
	s_addc_u32 s25, s25, 0
	s_cbranch_vccnz .LBB0_9
; %bb.7:                                ;   in Loop: Header=BB0_2 Depth=1
	v_mov_b64_e32 v[8:9], v[4:5]
	s_branch .LBB0_2
.LBB0_8:
	v_mov_b64_e32 v[2:3], v[48:49]
	v_mov_b64_e32 v[4:5], v[8:9]
.LBB0_9:
	s_load_dwordx2 s[0:1], s[0:1], 0x28
	s_lshl_b64 s[20:21], s[6:7], 3
	s_add_u32 s6, s14, s20
	s_addc_u32 s7, s15, s21
                                        ; implicit-def: $sgpr14
                                        ; implicit-def: $vgpr100
	s_waitcnt lgkmcnt(0)
	v_cmp_gt_u64_e32 vcc, s[0:1], v[4:5]
	v_cmp_le_u64_e64 s[0:1], s[0:1], v[4:5]
	s_and_saveexec_b64 s[2:3], s[0:1]
	s_xor_b64 s[0:1], exec, s[2:3]
; %bb.10:
	s_mov_b32 s2, 0x4a7904b
	v_mul_hi_u32 v1, v0, s2
	v_mul_u32_u24_e32 v1, 55, v1
	v_sub_u32_e32 v100, v0, v1
	s_mov_b32 s14, 0
                                        ; implicit-def: $vgpr0
                                        ; implicit-def: $vgpr48_vgpr49
; %bb.11:
	s_or_saveexec_b64 s[2:3], s[0:1]
	s_load_dwordx2 s[6:7], s[6:7], 0x0
	v_mov_b32_e32 v7, s14
	v_mov_b32_e32 v43, s14
                                        ; implicit-def: $vgpr52
                                        ; implicit-def: $vgpr20
                                        ; implicit-def: $vgpr14
                                        ; implicit-def: $vgpr10
                                        ; implicit-def: $vgpr12
                                        ; implicit-def: $vgpr46
                                        ; implicit-def: $vgpr44
                                        ; implicit-def: $vgpr28
                                        ; implicit-def: $vgpr24
                                        ; implicit-def: $vgpr26
                                        ; implicit-def: $vgpr18
                                        ; implicit-def: $vgpr36
                                        ; implicit-def: $vgpr16
                                        ; implicit-def: $vgpr8
                                        ; implicit-def: $vgpr30
                                        ; implicit-def: $vgpr34
                                        ; implicit-def: $vgpr22
                                        ; implicit-def: $vgpr32
                                        ; implicit-def: $vgpr38
                                        ; implicit-def: $vgpr40
	s_xor_b64 exec, exec, s[2:3]
	s_cbranch_execz .LBB0_15
; %bb.12:
	s_add_u32 s0, s12, s20
	s_addc_u32 s1, s13, s21
	s_load_dwordx2 s[0:1], s[0:1], 0x0
	s_mov_b32 s12, 0x4a7904b
	v_mov_b32_e32 v43, 0
                                        ; implicit-def: $vgpr37
                                        ; implicit-def: $vgpr19
                                        ; implicit-def: $vgpr45
                                        ; implicit-def: $vgpr47
                                        ; implicit-def: $vgpr21
	s_waitcnt lgkmcnt(0)
	v_mul_lo_u32 v1, s1, v4
	v_mul_lo_u32 v8, s0, v5
	v_mad_u64_u32 v[6:7], s[0:1], s0, v4, 0
	v_add3_u32 v7, v7, v8, v1
	v_mul_hi_u32 v1, v0, s12
	v_mul_u32_u24_e32 v1, 55, v1
	v_sub_u32_e32 v100, v0, v1
	v_mad_u64_u32 v[0:1], s[0:1], s18, v100, 0
	v_mov_b32_e32 v8, v1
	v_mad_u64_u32 v[8:9], s[0:1], s19, v100, v[8:9]
	v_lshl_add_u64 v[6:7], v[6:7], 3, s[8:9]
	v_mov_b32_e32 v1, v8
	v_lshl_add_u64 v[48:49], v[48:49], 3, v[6:7]
	v_add_u32_e32 v9, 0x69, v100
	v_lshl_add_u64 v[6:7], v[0:1], 3, v[48:49]
	v_mad_u64_u32 v[0:1], s[0:1], s18, v9, 0
	v_mov_b32_e32 v8, v1
	v_mad_u64_u32 v[8:9], s[0:1], s19, v9, v[8:9]
	v_mov_b32_e32 v1, v8
	v_add_u32_e32 v9, 0xd2, v100
	v_lshl_add_u64 v[10:11], v[0:1], 3, v[48:49]
	v_mad_u64_u32 v[0:1], s[0:1], s18, v9, 0
	v_mov_b32_e32 v8, v1
	v_mad_u64_u32 v[8:9], s[0:1], s19, v9, v[8:9]
	v_mov_b32_e32 v1, v8
	;; [unrolled: 6-line block ×3, first 2 shown]
	v_lshl_add_u64 v[14:15], v[0:1], 3, v[48:49]
	global_load_dwordx2 v[8:9], v[6:7], off
	global_load_dwordx2 v[0:1], v[10:11], off
	;; [unrolled: 1-line block ×4, first 2 shown]
	v_add_u32_e32 v11, 0x1a4, v100
	v_mad_u64_u32 v[6:7], s[0:1], s18, v11, 0
	v_mov_b32_e32 v10, v7
	v_mad_u64_u32 v[10:11], s[0:1], s19, v11, v[10:11]
	v_add_u32_e32 v13, 0x20d, v100
	v_mov_b32_e32 v7, v10
	v_mad_u64_u32 v[10:11], s[0:1], s18, v13, 0
	v_mov_b32_e32 v12, v11
	v_mad_u64_u32 v[12:13], s[0:1], s19, v13, v[12:13]
	v_add_u32_e32 v15, 0x276, v100
	v_mov_b32_e32 v11, v12
	;; [unrolled: 5-line block ×3, first 2 shown]
	v_mad_u64_u32 v[14:15], s[0:1], s18, v17, 0
	v_mov_b32_e32 v16, v15
	v_mad_u64_u32 v[16:17], s[0:1], s19, v17, v[16:17]
	v_lshl_add_u64 v[6:7], v[6:7], 3, v[48:49]
	v_lshl_add_u64 v[10:11], v[10:11], 3, v[48:49]
	v_mov_b32_e32 v15, v16
	v_lshl_add_u64 v[12:13], v[12:13], 3, v[48:49]
	v_lshl_add_u64 v[14:15], v[14:15], 3, v[48:49]
	global_load_dwordx2 v[34:35], v[6:7], off
	global_load_dwordx2 v[22:23], v[10:11], off
	;; [unrolled: 1-line block ×4, first 2 shown]
	v_add_u32_e32 v11, 0x348, v100
	v_mad_u64_u32 v[6:7], s[0:1], s18, v11, 0
	v_mov_b32_e32 v10, v7
	v_mad_u64_u32 v[10:11], s[0:1], s19, v11, v[10:11]
	v_add_u32_e32 v13, 0x3b1, v100
	v_mov_b32_e32 v7, v10
	v_mad_u64_u32 v[10:11], s[0:1], s18, v13, 0
	v_mov_b32_e32 v12, v11
	v_mad_u64_u32 v[12:13], s[0:1], s19, v13, v[12:13]
	v_add_u32_e32 v15, 0x41a, v100
	v_mov_b32_e32 v11, v12
	v_mad_u64_u32 v[12:13], s[0:1], s18, v15, 0
	v_mov_b32_e32 v14, v13
	v_mad_u64_u32 v[14:15], s[0:1], s19, v15, v[14:15]
	v_lshl_add_u64 v[6:7], v[6:7], 3, v[48:49]
	v_mov_b32_e32 v13, v14
	v_lshl_add_u64 v[10:11], v[10:11], 3, v[48:49]
	v_lshl_add_u64 v[12:13], v[12:13], 3, v[48:49]
	global_load_dwordx2 v[38:39], v[6:7], off
	global_load_dwordx2 v[40:41], v[10:11], off
	;; [unrolled: 1-line block ×3, first 2 shown]
	v_cmp_gt_u32_e64 s[0:1], 50, v100
	v_mov_b32_e32 v7, 0
                                        ; implicit-def: $vgpr17
                                        ; implicit-def: $vgpr13
                                        ; implicit-def: $vgpr11
                                        ; implicit-def: $vgpr15
	s_and_saveexec_b64 s[8:9], s[0:1]
	s_cbranch_execz .LBB0_14
; %bb.13:
	v_add_u32_e32 v11, 55, v100
	v_mad_u64_u32 v[6:7], s[0:1], s18, v11, 0
	v_mov_b32_e32 v10, v7
	v_mad_u64_u32 v[10:11], s[0:1], s19, v11, v[10:11]
	v_mov_b32_e32 v7, v10
	v_add_u32_e32 v11, 0xa0, v100
	v_lshl_add_u64 v[12:13], v[6:7], 3, v[48:49]
	v_mad_u64_u32 v[6:7], s[0:1], s18, v11, 0
	v_mov_b32_e32 v10, v7
	v_mad_u64_u32 v[10:11], s[0:1], s19, v11, v[10:11]
	v_mov_b32_e32 v7, v10
	v_add_u32_e32 v11, 0x109, v100
	v_lshl_add_u64 v[14:15], v[6:7], 3, v[48:49]
	v_mad_u64_u32 v[6:7], s[0:1], s18, v11, 0
	v_mov_b32_e32 v10, v7
	v_mad_u64_u32 v[10:11], s[0:1], s19, v11, v[10:11]
	v_mov_b32_e32 v7, v10
	v_lshl_add_u64 v[16:17], v[6:7], 3, v[48:49]
	global_load_dwordx2 v[6:7], v[12:13], off
	global_load_dwordx2 v[42:43], v[14:15], off
	;; [unrolled: 1-line block ×3, first 2 shown]
	v_add_u32_e32 v15, 0x172, v100
	v_mad_u64_u32 v[12:13], s[0:1], s18, v15, 0
	v_mov_b32_e32 v14, v13
	v_mad_u64_u32 v[14:15], s[0:1], s19, v15, v[14:15]
	v_mov_b32_e32 v13, v14
	v_add_u32_e32 v15, 0x1db, v100
	v_lshl_add_u64 v[44:45], v[12:13], 3, v[48:49]
	v_mad_u64_u32 v[12:13], s[0:1], s18, v15, 0
	v_mov_b32_e32 v14, v13
	v_mad_u64_u32 v[14:15], s[0:1], s19, v15, v[14:15]
	v_mov_b32_e32 v13, v14
	v_add_u32_e32 v15, 0x244, v100
	v_lshl_add_u64 v[46:47], v[12:13], 3, v[48:49]
	;; [unrolled: 6-line block ×6, first 2 shown]
	v_mad_u64_u32 v[12:13], s[0:1], s18, v15, 0
	v_add_u32_e32 v19, 0x316, v100
	v_mov_b32_e32 v14, v13
	v_mad_u64_u32 v[16:17], s[0:1], s18, v19, 0
	v_mad_u64_u32 v[14:15], s[0:1], s19, v15, v[14:15]
	v_mov_b32_e32 v18, v17
	v_mov_b32_e32 v13, v14
	v_lshl_add_u64 v[54:55], v[12:13], 3, v[48:49]
	global_load_dwordx2 v[14:15], v[20:21], off
	global_load_dwordx2 v[12:13], v[36:37], off
	;; [unrolled: 1-line block ×3, first 2 shown]
	v_mad_u64_u32 v[18:19], s[0:1], s19, v19, v[18:19]
	v_mov_b32_e32 v17, v18
	v_lshl_add_u64 v[48:49], v[16:17], 3, v[48:49]
	global_load_dwordx2 v[18:19], v[46:47], off
	global_load_dwordx2 v[36:37], v[50:51], off
	;; [unrolled: 1-line block ×5, first 2 shown]
	s_waitcnt vmcnt(9)
	v_mov_b32_e32 v46, v42
	s_waitcnt vmcnt(8)
	v_mov_b32_e32 v47, v10
	v_mov_b32_e32 v10, v43
	v_mov_b32_e32 v43, v6
	s_waitcnt vmcnt(6)
	v_mov_b32_e32 v45, v12
	s_waitcnt vmcnt(5)
	v_mov_b32_e32 v44, v56
	v_mov_b32_e32 v12, v57
	s_waitcnt vmcnt(2)
	v_mov_b32_e32 v42, v54
	v_mov_b32_e32 v6, v55
.LBB0_14:
	s_or_b64 exec, exec, s[8:9]
	s_waitcnt vmcnt(7)
	v_mov_b32_e32 v52, v29
	v_mov_b32_e32 v53, v1
	;; [unrolled: 1-line block ×3, first 2 shown]
.LBB0_15:
	s_or_b64 exec, exec, s[2:3]
	v_add_f32_e32 v0, v8, v29
	s_waitcnt vmcnt(1)
	v_pk_add_f32 v[54:55], v[30:31], v[40:41] neg_lo:[0,1] neg_hi:[0,1]
	v_pk_add_f32 v[50:51], v[30:31], v[40:41]
	s_mov_b32 s0, 0x3ed4b147
	v_add_f32_e32 v94, v0, v30
	v_mov_b32_e32 v0, v55
	v_mov_b32_e32 v1, v50
	s_mov_b32 s1, 0x3f575c64
	s_mov_b32 s2, 0xbf68dda4
	;; [unrolled: 1-line block ×3, first 2 shown]
	v_pk_mul_f32 v[48:49], v[0:1], s[2:3]
	s_mov_b32 s15, 0xbf7d64f0
	v_mov_b32_e32 v57, v48
	v_pk_fma_f32 v[98:99], v[0:1], s[2:3], v[56:57]
	v_mov_b32_e32 v0, v28
	v_mov_b32_e32 v1, v52
	v_pk_add_f32 v[62:63], v[0:1], v[38:39] neg_lo:[0,1] neg_hi:[0,1]
	v_pk_add_f32 v[58:59], v[0:1], v[38:39]
	v_mov_b32_e32 v0, v63
	v_mov_b32_e32 v1, v58
	s_mov_b32 s19, 0xbe11bafb
	s_mov_b32 s18, s15
	v_sub_f32_e32 v112, v49, v48
	v_pk_mul_f32 v[48:49], v[0:1], s[18:19]
	v_pk_add_f32 v[64:65], v[34:35], v[32:33] neg_lo:[0,1] neg_hi:[0,1]
	v_mov_b32_e32 v57, v48
	v_pk_add_f32 v[60:61], v[34:35], v[32:33]
	s_mov_b32 s12, 0xbf27a4f4
	v_pk_fma_f32 v[102:103], v[0:1], s[18:19], v[56:57]
	v_mov_b32_e32 v0, v65
	v_mov_b32_e32 v1, v60
	s_mov_b32 s20, 0xbf4178ce
	s_mov_b32 s21, s12
	v_sub_f32_e32 v113, v49, v48
	v_pk_mul_f32 v[48:49], v[0:1], s[20:21]
	v_pk_add_f32 v[68:69], v[22:23], v[26:27] neg_lo:[0,1] neg_hi:[0,1]
	v_mov_b32_e32 v57, v48
	v_pk_add_f32 v[66:67], v[26:27], v[22:23]
	s_mov_b32 s18, 0xbf75a155
	v_pk_fma_f32 v[104:105], v[0:1], s[20:21], v[56:57]
	v_mov_b32_e32 v0, v69
	v_mov_b32_e32 v1, v66
	s_mov_b32 s22, 0xbe903f40
	s_mov_b32 s23, s18
	;; [unrolled: 1-line block ×3, first 2 shown]
	v_sub_f32_e32 v114, v49, v48
	v_pk_mul_f32 v[48:49], v[0:1], s[22:23]
	v_pk_add_f32 v[72:73], v[10:11], v[12:13] neg_lo:[0,1] neg_hi:[0,1]
	v_mov_b32_e32 v57, v48
	s_mov_b32 s3, s8
	v_pk_fma_f32 v[106:107], v[0:1], s[22:23], v[56:57]
	v_mov_b32_e32 v0, v37
	v_pk_add_f32 v[78:79], v[46:47], v[44:45]
	v_pk_mul_f32 v[70:71], v[72:73], s[2:3] op_sel_hi:[0,1]
	s_mov_b32 s21, s2
	s_waitcnt vmcnt(0)
	v_pk_add_f32 v[80:81], v[20:21], v[14:15] neg_lo:[0,1] neg_hi:[0,1]
	v_pk_add_f32 v[76:77], v[0:1], v[6:7] op_sel_hi:[0,1] neg_lo:[0,1] neg_hi:[0,1]
	v_pk_fma_f32 v[0:1], v[78:79], s[0:1], v[70:71] op_sel_hi:[0,1,1] neg_lo:[0,0,1] neg_hi:[0,0,1]
	v_mov_b32_e32 v30, v43
	s_mov_b32 s13, s0
	v_pk_mul_f32 v[86:87], v[72:73], s[20:21] op_sel:[1,0]
	s_mov_b32 s24, 0x3e903f40
	s_mov_b32 s25, s15
	v_pk_add_f32 v[82:83], v[20:21], v[14:15]
	v_pk_add_f32 v[0:1], v[30:31], v[0:1] op_sel_hi:[0,1]
	v_pk_fma_f32 v[84:85], v[78:79], s[12:13], v[86:87] op_sel:[1,0,0] neg_lo:[0,0,1] neg_hi:[0,0,1]
	v_pk_mul_f32 v[90:91], v[80:81], s[24:25] op_sel:[1,0]
	v_sub_f32_e32 v115, v49, v48
	v_pk_add_f32 v[48:49], v[18:19], v[16:17] neg_lo:[0,1] neg_hi:[0,1]
	v_pk_add_f32 v[0:1], v[0:1], v[84:85]
	v_pk_fma_f32 v[84:85], v[82:83], s[18:19], v[90:91] op_sel_hi:[0,1,1] neg_lo:[0,0,1] neg_hi:[0,0,1]
	s_mov_b32 s28, 0x3f7d64f0
	s_mov_b32 s29, s20
	v_pk_add_f32 v[56:57], v[18:19], v[16:17]
	v_pk_add_f32 v[0:1], v[0:1], v[84:85]
	s_mov_b32 s26, s19
	s_mov_b32 s27, s12
	v_pk_mul_f32 v[84:85], v[48:49], s[28:29] op_sel:[1,0]
	s_mov_b32 s44, 0x3f0a6770
	v_pk_fma_f32 v[88:89], v[56:57], s[26:27], v[84:85] op_sel_hi:[0,1,1] neg_lo:[0,0,1] neg_hi:[0,0,1]
	s_mov_b32 s45, s22
	v_pk_add_f32 v[74:75], v[36:37], v[42:43]
	v_pk_add_f32 v[0:1], v[88:89], v[0:1]
	s_mov_b32 s30, s1
	s_mov_b32 s31, s18
	v_pk_mul_f32 v[88:89], v[76:77], s[44:45] op_sel_hi:[0,1]
	v_pk_fma_f32 v[108:109], v[74:75], s[30:31], v[88:89] op_sel_hi:[0,1,1] neg_lo:[0,0,1] neg_hi:[0,0,1]
	v_mov_b32_e32 v95, v24
	v_pk_add_f32 v[0:1], v[0:1], v[108:109]
	v_pk_add_f32 v[94:95], v[94:95], v[28:29]
	v_mov_b32_e32 v109, 0x3f575c64
	v_mov_b32_e32 v108, v34
	v_pk_add_f32 v[92:93], v[52:53], v[24:25] neg_lo:[0,1] neg_hi:[0,1]
	v_pk_add_f32 v[110:111], v[94:95], v[34:35]
	v_pk_mul_f32 v[108:109], v[94:95], v[108:109]
	v_mul_f32_e32 v97, 0xbf0a6770, v93
	v_mov_b32_e32 v111, v109
	v_mov_b32_e32 v96, v22
	v_pk_add_f32 v[96:97], v[110:111], v[96:97]
	v_mov_b32_e32 v110, v26
	v_mov_b32_e32 v111, v8
	v_pk_add_f32 v[96:97], v[96:97], v[110:111]
	v_mov_b32_e32 v98, v32
	v_pk_add_f32 v[96:97], v[96:97], v[98:99]
	;; [unrolled: 2-line block ×4, first 2 shown]
	v_mov_b32_e32 v106, v24
	v_mad_u32_u24 v101, v100, 44, 0
	v_pk_add_f32 v[96:97], v[106:107], v[96:97]
	s_mov_b32 s3, s15
	v_fmac_f32_e32 v109, 0x3f0a6770, v93
	ds_write2_b32 v101, v96, v97 offset1:1
	v_pk_mul_f32 v[96:97], v[92:93], s[2:3] op_sel:[1,0]
	s_mov_b32 s21, s24
	s_mov_b32 s23, 0x3f68dda4
	;; [unrolled: 1-line block ×4, first 2 shown]
	v_add_f32_e32 v22, v109, v8
	s_mov_b32 s34, s12
	s_mov_b32 s35, s18
	v_pk_mul_f32 v[98:99], v[54:55], s[20:21] op_sel:[1,0]
	s_mov_b32 s25, s23
	v_pk_fma_f32 v[116:117], v[94:95], s[42:43], v[96:97] op_sel:[1,0,0]
	v_add_f32_e32 v22, v112, v22
	v_pk_fma_f32 v[102:103], v[50:51], s[34:35], v[98:99] op_sel_hi:[0,1,1]
	s_mov_b32 s36, s18
	s_mov_b32 s37, s0
	v_pk_mul_f32 v[104:105], v[62:63], s[24:25] op_sel:[1,0]
	s_mov_b32 s29, s8
	v_pk_add_f32 v[116:117], v[116:117], v[8:9] op_sel_hi:[1,0]
	v_add_f32_e32 v22, v113, v22
	v_pk_fma_f32 v[106:107], v[58:59], s[36:37], v[104:105] op_sel_hi:[0,1,1]
	s_mov_b32 s38, s19
	s_mov_b32 s39, s1
	v_pk_mul_f32 v[108:109], v[64:65], s[28:29] op_sel:[1,0]
	s_mov_b32 s45, s20
	v_pk_add_f32 v[102:103], v[102:103], v[116:117]
	v_add_f32_e32 v22, v114, v22
	v_pk_fma_f32 v[110:111], v[60:61], s[38:39], v[108:109] op_sel_hi:[0,1,1]
	s_mov_b32 s40, s1
	s_mov_b32 s41, s12
	v_pk_mul_f32 v[112:113], v[68:69], s[44:45] op_sel:[1,0]
	v_pk_add_f32 v[102:103], v[106:107], v[102:103]
	v_add_f32_e32 v26, v115, v22
	v_pk_fma_f32 v[114:115], v[66:67], s[40:41], v[112:113] op_sel_hi:[0,1,1]
	v_pk_add_f32 v[102:103], v[110:111], v[102:103]
	s_mov_b32 s21, s22
	v_pk_add_f32 v[102:103], v[114:115], v[102:103]
	v_pk_mul_f32 v[92:93], v[92:93], s[20:21] op_sel:[1,0]
	s_mov_b32 s29, s44
	ds_write2_b32 v101, v102, v103 offset0:2 offset1:3
	v_pk_mul_f32 v[102:103], v[54:55], s[28:29] op_sel:[1,0]
	s_mov_b32 s9, s20
	v_pk_fma_f32 v[124:125], v[94:95], s[34:35], v[92:93] op_sel:[1,0,0]
	v_pk_fma_f32 v[106:107], v[50:51], s[38:39], v[102:103] op_sel_hi:[0,1,1]
	v_pk_mul_f32 v[110:111], v[62:63], s[8:9] op_sel:[1,0]
	v_pk_add_f32 v[124:125], v[124:125], v[8:9] op_sel_hi:[1,0]
	v_pk_fma_f32 v[114:115], v[58:59], s[40:41], v[110:111] op_sel_hi:[0,1,1]
	v_pk_mul_f32 v[116:117], v[64:65], s[22:23] op_sel:[1,0]
	s_mov_b32 s14, s23
	v_pk_add_f32 v[106:107], v[106:107], v[124:125]
	v_pk_fma_f32 v[118:119], v[60:61], s[36:37], v[116:117] op_sel_hi:[0,1,1]
	v_pk_mul_f32 v[120:121], v[68:69], s[14:15] op_sel:[1,0]
	v_pk_add_f32 v[106:107], v[114:115], v[106:107]
	v_pk_fma_f32 v[122:123], v[66:67], s[42:43], v[120:121] op_sel_hi:[0,1,1]
	v_pk_add_f32 v[106:107], v[118:119], v[106:107]
	v_pk_fma_f32 v[92:93], v[94:95], s[34:35], v[92:93] op_sel:[1,0,0] neg_lo:[0,0,1] neg_hi:[0,0,1]
	v_pk_add_f32 v[106:107], v[122:123], v[106:107]
	v_pk_fma_f32 v[102:103], v[50:51], s[38:39], v[102:103] op_sel_hi:[0,1,1] neg_lo:[0,0,1] neg_hi:[0,0,1]
	v_pk_add_f32 v[92:93], v[92:93], v[8:9] op_sel_hi:[1,0]
	ds_write2_b32 v101, v106, v107 offset0:4 offset1:5
	v_pk_fma_f32 v[106:107], v[58:59], s[40:41], v[110:111] op_sel_hi:[0,1,1] neg_lo:[0,0,1] neg_hi:[0,0,1]
	v_pk_add_f32 v[92:93], v[102:103], v[92:93]
	v_pk_fma_f32 v[110:111], v[60:61], s[36:37], v[116:117] op_sel_hi:[0,1,1] neg_lo:[0,0,1] neg_hi:[0,0,1]
	v_pk_add_f32 v[92:93], v[106:107], v[92:93]
	;; [unrolled: 2-line block ×3, first 2 shown]
	v_pk_fma_f32 v[94:95], v[94:95], s[42:43], v[96:97] op_sel:[1,0,0] neg_lo:[0,0,1] neg_hi:[0,0,1]
	v_pk_add_f32 v[92:93], v[114:115], v[92:93]
	ds_write2_b32 v101, v93, v92 offset0:6 offset1:7
	v_pk_fma_f32 v[92:93], v[50:51], s[34:35], v[98:99] op_sel_hi:[0,1,1] neg_lo:[0,0,1] neg_hi:[0,0,1]
	v_pk_add_f32 v[94:95], v[94:95], v[8:9] op_sel_hi:[1,0]
	v_pk_fma_f32 v[98:99], v[58:59], s[36:37], v[104:105] op_sel_hi:[0,1,1] neg_lo:[0,0,1] neg_hi:[0,0,1]
	v_pk_add_f32 v[92:93], v[92:93], v[94:95]
	v_pk_fma_f32 v[102:103], v[60:61], s[38:39], v[108:109] op_sel_hi:[0,1,1] neg_lo:[0,0,1] neg_hi:[0,0,1]
	v_pk_add_f32 v[92:93], v[98:99], v[92:93]
	;; [unrolled: 2-line block ×3, first 2 shown]
	v_cmp_gt_u32_e64 s[2:3], 50, v100
	v_pk_add_f32 v[92:93], v[104:105], v[92:93]
	ds_write2_b32 v101, v93, v92 offset0:8 offset1:9
	ds_write_b32 v101, v26 offset:40
	v_mov_b32_e32 v22, v93
	v_mov_b32_e32 v77, v92
	s_and_saveexec_b64 s[44:45], s[2:3]
	s_cbranch_execz .LBB0_17
; %bb.16:
	v_mov_b32_e32 v80, v81
	v_mov_b32_e32 v122, v81
	v_pk_mul_f32 v[80:81], v[80:81], s[8:9]
	s_mov_b32 s8, s19
	s_mov_b32 s9, s18
	v_mov_b32_e32 v92, v78
	v_mov_b32_e32 v93, v78
	v_pk_mul_f32 v[94:95], v[78:79], s[0:1] op_sel_hi:[0,1]
	v_mov_b32_e32 v96, v72
	v_mov_b32_e32 v97, v72
	;; [unrolled: 1-line block ×4, first 2 shown]
	v_pk_mul_f32 v[104:105], v[78:79], s[12:13] op_sel:[1,0]
	v_mov_b32_e32 v106, v73
	v_mov_b32_e32 v107, v73
	;; [unrolled: 1-line block ×5, first 2 shown]
	v_pk_mul_f32 v[78:79], v[78:79], s[8:9]
	s_mov_b32 s8, s15
	s_mov_b32 s9, s24
	v_mov_b32_e32 v108, v82
	v_mov_b32_e32 v109, v82
	v_pk_mul_f32 v[110:111], v[82:83], s[18:19] op_sel_hi:[0,1]
	v_mov_b32_e32 v123, v82
	v_pk_mul_f32 v[82:83], v[96:97], s[20:21]
	v_pk_mul_f32 v[96:97], v[106:107], s[28:29]
	;; [unrolled: 1-line block ×4, first 2 shown]
	v_pk_fma_f32 v[124:125], v[72:73], s[8:9], v[78:79] neg_lo:[1,0,0] neg_hi:[1,0,0]
	s_mov_b32 s14, s23
	s_mov_b32 s15, s0
	v_pk_mul_f32 v[126:127], v[122:123], s[14:15]
	v_add_f32_e32 v28, v43, v124
	v_sub_f32_e32 v26, v127, v126
	v_add_f32_e32 v28, v28, v125
	v_mul_f32_e32 v30, 0xbf0a6770, v49
	v_add_f32_e32 v26, v28, v26
	v_fma_f32 v32, v56, s1, -v30
	v_mul_f32_e32 v34, 0xbf4178ce, v76
	v_pk_fma_f32 v[72:73], v[72:73], s[8:9], v[78:79]
	v_mov_b32_e32 v76, v70
	v_mov_b32_e32 v77, v86
	;; [unrolled: 1-line block ×5, first 2 shown]
	v_add_f32_e32 v26, v32, v26
	v_fma_f32 v38, v74, s12, -v34
	v_pk_add_f32 v[76:77], v[76:77], v[78:79]
	v_add_f32_e32 v38, v26, v38
	v_pk_add_f32 v[78:79], v[22:23], v[76:77]
	v_mov_b32_e32 v26, v77
	v_mov_b32_e32 v118, v74
	;; [unrolled: 1-line block ×3, first 2 shown]
	v_pk_mul_f32 v[120:121], v[74:75], s[30:31] op_sel_hi:[0,1]
	v_mul_f32_e32 v32, 0xbf27a4f4, v74
	v_pk_add_f32 v[74:75], v[22:23], v[72:73]
	v_pk_add_f32 v[76:77], v[78:79], v[26:27]
	;; [unrolled: 1-line block ×4, first 2 shown]
	v_mov_b32_e32 v22, v47
	v_pk_add_f32 v[110:111], v[110:111], v[22:23]
	v_mov_b32_e32 v94, v36
	v_pk_add_f32 v[110:111], v[110:111], v[20:21]
	v_pk_add_f32 v[86:87], v[86:87], v[104:105]
	;; [unrolled: 1-line block ×3, first 2 shown]
	v_pk_mul_f32 v[114:115], v[56:57], s[26:27] op_sel_hi:[0,1]
	v_mov_b32_e32 v111, v71
	v_pk_add_f32 v[70:71], v[110:111], v[94:95]
	v_mov_b32_e32 v86, v16
	v_pk_add_f32 v[70:71], v[70:71], v[42:43]
	;; [unrolled: 2-line block ×3, first 2 shown]
	v_pk_add_f32 v[70:71], v[86:87], v[70:71]
	v_mov_b32_e32 v86, v14
	v_mov_b32_e32 v87, v79
	v_pk_add_f32 v[72:73], v[74:75], v[72:73]
	v_mov_b32_e32 v75, v126
	v_pk_add_f32 v[104:105], v[88:89], v[120:121]
	v_pk_add_f32 v[70:71], v[86:87], v[70:71]
	v_mov_b32_e32 v90, v45
	v_mul_f32_e32 v28, 0x3f575c64, v56
	v_pk_fma_f32 v[74:75], v[122:123], s[14:15], v[74:75]
	v_pk_add_f32 v[70:71], v[90:91], v[70:71]
	v_mov_b32_e32 v104, v44
	v_add_u32_e32 v18, 0x974, v101
	v_pk_add_f32 v[70:71], v[104:105], v[70:71]
	v_mov_b32_e32 v77, v30
	v_mov_b32_e32 v79, v28
	;; [unrolled: 1-line block ×4, first 2 shown]
	ds_write2_b32 v18, v70, v71 offset1:1
	v_pk_add_f32 v[70:71], v[76:77], v[78:79]
	v_pk_add_f32 v[72:73], v[84:85], v[114:115]
	v_mov_b32_e32 v89, v34
	v_mov_b32_e32 v121, v32
	v_pk_add_f32 v[70:71], v[70:71], v[72:73]
	v_pk_add_f32 v[72:73], v[88:89], v[120:121]
	v_add_u32_e32 v16, 0x97c, v101
	v_pk_add_f32 v[70:71], v[70:71], v[72:73]
	v_mov_b32_e32 v98, v43
	v_mov_b32_e32 v99, v43
	ds_write2_b32 v16, v70, v71 offset1:1
	v_pk_fma_f32 v[70:71], v[92:93], s[34:35], v[82:83]
	v_pk_fma_f32 v[72:73], v[102:103], s[38:39], v[96:97]
	v_pk_add_f32 v[70:71], v[98:99], v[70:71]
	v_mov_b32_e32 v112, v56
	v_mov_b32_e32 v113, v56
	v_pk_add_f32 v[70:71], v[70:71], v[72:73]
	v_pk_fma_f32 v[72:73], v[108:109], s[40:41], v[80:81]
	v_add_u32_e32 v16, 0x984, v101
	v_pk_add_f32 v[70:71], v[70:71], v[72:73]
	v_pk_fma_f32 v[72:73], v[112:113], s[36:37], v[106:107]
	v_add_u32_e32 v18, 0x98c, v101
	v_pk_add_f32 v[70:71], v[72:73], v[70:71]
	v_pk_fma_f32 v[72:73], v[118:119], s[42:43], v[116:117]
	s_nop 0
	v_pk_add_f32 v[70:71], v[70:71], v[72:73]
	ds_write2_b32 v16, v70, v71 offset1:1
	v_pk_fma_f32 v[70:71], v[92:93], s[34:35], v[82:83] neg_lo:[0,0,1] neg_hi:[0,0,1]
	v_pk_fma_f32 v[72:73], v[102:103], s[38:39], v[96:97] neg_lo:[0,0,1] neg_hi:[0,0,1]
	v_pk_add_f32 v[70:71], v[98:99], v[70:71]
	v_add_u32_e32 v16, 0x998, v101
	v_pk_add_f32 v[70:71], v[70:71], v[72:73]
	v_pk_fma_f32 v[72:73], v[108:109], s[40:41], v[80:81] neg_lo:[0,0,1] neg_hi:[0,0,1]
	s_nop 0
	v_pk_add_f32 v[70:71], v[70:71], v[72:73]
	v_pk_fma_f32 v[72:73], v[112:113], s[36:37], v[106:107] neg_lo:[0,0,1] neg_hi:[0,0,1]
	s_nop 0
	;; [unrolled: 3-line block ×3, first 2 shown]
	v_pk_add_f32 v[70:71], v[70:71], v[72:73]
	ds_write2_b32 v18, v71, v70 offset1:1
	ds_write_b32 v101, v38 offset:2452
	ds_write2_b32 v16, v0, v1 offset1:1
.LBB0_17:
	s_or_b64 exec, exec, s[44:45]
	s_movk_i32 s0, 0xffd8
	v_mad_i32_i24 v94, v100, s0, v101
	v_add_u32_e32 v16, 0x200, v94
	s_waitcnt lgkmcnt(0)
	; wave barrier
	s_waitcnt lgkmcnt(0)
	ds_read2_b32 v[84:85], v16 offset0:103 offset1:158
	v_add_u32_e32 v16, 0x600, v94
	ds_read2_b32 v[86:87], v16 offset0:78 offset1:133
	v_add_u32_e32 v16, 0x800, v94
	v_add_u32_e32 v18, 0xc00, v94
	;; [unrolled: 1-line block ×3, first 2 shown]
	ds_read2_b32 v[72:73], v94 offset1:55
	ds_read2_b32 v[88:89], v16 offset0:181 offset1:236
	ds_read2_b32 v[90:91], v18 offset0:156 offset1:211
	;; [unrolled: 1-line block ×6, first 2 shown]
	v_add_u32_e32 v16, 0x1000, v94
	ds_read2_b32 v[76:77], v16 offset0:10 offset1:65
	v_mov_b32_e32 v92, v37
	v_mov_b32_e32 v93, v37
	v_cmp_gt_u32_e64 s[0:1], 11, v100
                                        ; implicit-def: $vgpr95
                                        ; implicit-def: $vgpr75
	s_and_saveexec_b64 s[8:9], s[0:1]
	s_cbranch_execz .LBB0_19
; %bb.18:
	v_add_u32_e32 v0, 0x340, v94
	v_add_u32_e32 v16, 0xa80, v94
	ds_read2_b32 v[0:1], v0 offset0:12 offset1:243
	ds_read2_b32 v[74:75], v16 offset0:10 offset1:241
	ds_read_b32 v95, v94 offset:4576
.LBB0_19:
	s_or_b64 exec, exec, s[8:9]
	v_add_f32_e32 v18, v9, v53
	v_mov_b32_e32 v16, v29
	v_pk_add_f32 v[28:29], v[16:17], v[24:25] neg_lo:[0,1] neg_hi:[0,1]
	v_add_f32_e32 v24, v18, v31
	v_mov_b32_e32 v30, v51
	v_mov_b32_e32 v31, v54
	s_mov_b32 s39, 0xbf68dda4
	s_mov_b32 s38, 0x3ed4b147
	v_pk_mul_f32 v[98:99], v[30:31], s[38:39]
	s_mov_b32 s20, 0xbe11bafb
	v_mov_b32_e32 v103, v98
	v_add_f32_e32 v16, v98, v99
	v_mov_b32_e32 v98, v59
	v_mov_b32_e32 v99, v62
	s_mov_b32 s21, 0xbf7d64f0
	v_pk_fma_f32 v[30:31], v[30:31], s[38:39], v[102:103] neg_lo:[1,0,0] neg_hi:[1,0,0]
	v_pk_mul_f32 v[102:103], v[98:99], s[20:21]
	s_mov_b32 s42, 0xbf27a4f4
	v_mov_b32_e32 v105, v102
	v_add_f32_e32 v18, v102, v103
	v_mov_b32_e32 v102, v61
	v_mov_b32_e32 v103, v64
	s_mov_b32 s43, 0xbf4178ce
	v_pk_fma_f32 v[98:99], v[98:99], s[20:21], v[104:105] neg_lo:[1,0,0] neg_hi:[1,0,0]
	v_pk_mul_f32 v[104:105], v[102:103], s[42:43]
	v_pk_add_f32 v[52:53], v[24:25], v[52:53]
	v_mov_b32_e32 v107, v104
	v_mul_f32_e32 v22, 0x3f575c64, v53
	v_pk_fma_f32 v[102:103], v[102:103], s[42:43], v[106:107] neg_lo:[1,0,0] neg_hi:[1,0,0]
	v_mov_b32_e32 v107, 0x3f575c64
	v_mov_b32_e32 v106, v35
	v_fmac_f32_e32 v22, 0xbf0a6770, v28
	v_mul_f32_e32 v97, 0xbf0a6770, v28
	v_pk_add_f32 v[34:35], v[52:53], v[106:107]
	v_add_f32_e32 v22, v22, v9
	v_mov_b32_e32 v96, v23
	v_mov_b32_e32 v30, v33
	v_add_f32_e32 v16, v16, v22
	v_pk_add_f32 v[22:23], v[34:35], v[96:97]
	v_pk_fma_f32 v[32:33], v[52:53], v[106:107], v[96:97] neg_lo:[0,0,1] neg_hi:[0,0,1]
	v_mov_b32_e32 v26, v27
	v_mov_b32_e32 v27, v9
	v_mov_b32_e32 v23, v33
	s_mov_b32 s44, 0xbf75a155
	v_pk_add_f32 v[22:23], v[22:23], v[26:27]
	v_mov_b32_e32 v26, v67
	v_mov_b32_e32 v27, v68
	s_mov_b32 s45, 0xbe903f40
	v_pk_add_f32 v[22:23], v[22:23], v[30:31]
	v_pk_mul_f32 v[30:31], v[26:27], s[44:45]
	v_mov_b32_e32 v98, v39
	v_mov_b32_e32 v33, v30
	;; [unrolled: 1-line block ×3, first 2 shown]
	v_pk_add_f32 v[22:23], v[22:23], v[98:99]
	v_pk_fma_f32 v[26:27], v[26:27], s[44:45], v[32:33] neg_lo:[1,0,0] neg_hi:[1,0,0]
	v_pk_add_f32 v[22:23], v[22:23], v[102:103]
	v_mov_b32_e32 v26, v25
	s_mov_b32 s12, s39
	s_mov_b32 s13, s21
	v_pk_add_f32 v[96:97], v[26:27], v[22:23]
	v_pk_mul_f32 v[22:23], v[28:29], s[12:13] op_sel_hi:[0,1]
	s_mov_b32 s47, 0x3e903f40
	s_mov_b32 s46, s43
	;; [unrolled: 1-line block ×4, first 2 shown]
	v_add_f32_e32 v16, v18, v16
	v_add_f32_e32 v18, v104, v105
	s_mov_b32 s12, s42
	s_mov_b32 s13, s44
	v_pk_mul_f32 v[24:25], v[54:55], s[46:47] op_sel_hi:[0,1]
	s_mov_b32 s41, 0x3f68dda4
	s_mov_b32 s40, s47
	v_pk_fma_f32 v[34:35], v[52:53], s[18:19], v[22:23] op_sel:[1,0,0] neg_lo:[0,0,1] neg_hi:[0,0,1]
	v_add_f32_e32 v16, v18, v16
	v_add_f32_e32 v18, v30, v31
	v_pk_fma_f32 v[26:27], v[50:51], s[12:13], v[24:25] op_sel:[1,0,0] neg_lo:[0,0,1] neg_hi:[0,0,1]
	s_mov_b32 s14, s44
	s_mov_b32 s15, s38
	v_pk_mul_f32 v[30:31], v[62:63], s[40:41] op_sel_hi:[0,1]
	v_pk_add_f32 v[34:35], v[34:35], v[8:9] op_sel:[0,1]
	s_mov_b32 s31, 0xbf0a6770
	v_pk_fma_f32 v[32:33], v[58:59], s[14:15], v[30:31] op_sel:[1,0,0] neg_lo:[0,0,1] neg_hi:[0,0,1]
	v_pk_add_f32 v[26:27], v[26:27], v[34:35]
	s_mov_b32 s30, 0x3f7d64f0
	s_mov_b32 s9, 0x3f575c64
	v_pk_add_f32 v[26:27], v[32:33], v[26:27]
	s_mov_b32 s8, s20
	v_pk_mul_f32 v[32:33], v[64:65], s[30:31] op_sel_hi:[0,1]
	v_pk_fma_f32 v[34:35], v[60:61], s[8:9], v[32:33] op_sel:[1,0,0] neg_lo:[0,0,1] neg_hi:[0,0,1]
	s_mov_b32 s48, 0x3f0a6770
	s_mov_b32 s49, s43
	v_pk_add_f32 v[26:27], v[34:35], v[26:27]
	s_mov_b32 s22, s9
	s_mov_b32 s23, s42
	v_pk_mul_f32 v[34:35], v[68:69], s[48:49] op_sel_hi:[0,1]
	v_pk_fma_f32 v[22:23], v[52:53], s[18:19], v[22:23] op_sel:[1,0,0]
	v_pk_fma_f32 v[38:39], v[66:67], s[22:23], v[34:35] op_sel:[1,0,0] neg_lo:[0,0,1] neg_hi:[0,0,1]
	v_pk_fma_f32 v[24:25], v[50:51], s[12:13], v[24:25] op_sel:[1,0,0]
	v_pk_add_f32 v[22:23], v[22:23], v[8:9] op_sel:[0,1]
	v_pk_add_f32 v[98:99], v[38:39], v[26:27]
	v_pk_fma_f32 v[26:27], v[58:59], s[14:15], v[30:31] op_sel:[1,0,0]
	v_pk_add_f32 v[22:23], v[24:25], v[22:23]
	v_pk_fma_f32 v[24:25], v[60:61], s[8:9], v[32:33] op_sel:[1,0,0]
	v_pk_add_f32 v[22:23], v[26:27], v[22:23]
	s_mov_b32 s24, s43
	v_pk_add_f32 v[22:23], v[24:25], v[22:23]
	v_pk_fma_f32 v[24:25], v[66:67], s[22:23], v[34:35] op_sel:[1,0,0]
	s_mov_b32 s25, s45
	v_pk_add_f32 v[102:103], v[24:25], v[22:23]
	v_pk_mul_f32 v[22:23], v[28:29], s[24:25] op_sel_hi:[0,1]
	s_mov_b32 s26, s30
	s_mov_b32 s27, s48
	v_pk_mul_f32 v[24:25], v[54:55], s[26:27] op_sel_hi:[0,1]
	s_mov_b32 s28, s31
	s_mov_b32 s29, s43
	v_pk_fma_f32 v[32:33], v[52:53], s[12:13], v[22:23] op_sel:[1,0,0] neg_lo:[0,0,1] neg_hi:[0,0,1]
	v_pk_fma_f32 v[26:27], v[50:51], s[8:9], v[24:25] op_sel:[1,0,0] neg_lo:[0,0,1] neg_hi:[0,0,1]
	v_pk_mul_f32 v[28:29], v[62:63], s[28:29] op_sel_hi:[0,1]
	v_pk_add_f32 v[32:33], v[32:33], v[8:9] op_sel:[0,1]
	v_pk_fma_f32 v[30:31], v[58:59], s[22:23], v[28:29] op_sel:[1,0,0] neg_lo:[0,0,1] neg_hi:[0,0,1]
	v_pk_add_f32 v[26:27], v[26:27], v[32:33]
	s_mov_b32 s34, s45
	s_mov_b32 s35, s41
	v_pk_add_f32 v[26:27], v[30:31], v[26:27]
	v_pk_mul_f32 v[30:31], v[64:65], s[34:35] op_sel_hi:[0,1]
	v_pk_fma_f32 v[32:33], v[60:61], s[14:15], v[30:31] op_sel:[1,0,0] neg_lo:[0,0,1] neg_hi:[0,0,1]
	s_mov_b32 s36, s41
	s_mov_b32 s37, s21
	v_pk_add_f32 v[26:27], v[32:33], v[26:27]
	v_pk_mul_f32 v[32:33], v[68:69], s[36:37] op_sel_hi:[0,1]
	v_pk_fma_f32 v[22:23], v[52:53], s[12:13], v[22:23] op_sel:[1,0,0]
	v_pk_fma_f32 v[34:35], v[66:67], s[18:19], v[32:33] op_sel:[1,0,0] neg_lo:[0,0,1] neg_hi:[0,0,1]
	v_pk_fma_f32 v[24:25], v[50:51], s[8:9], v[24:25] op_sel:[1,0,0]
	v_pk_add_f32 v[8:9], v[22:23], v[8:9] op_sel:[0,1]
	v_pk_add_f32 v[54:55], v[34:35], v[26:27]
	v_pk_fma_f32 v[26:27], v[58:59], s[22:23], v[28:29] op_sel:[1,0,0]
	v_pk_add_f32 v[8:9], v[24:25], v[8:9]
	v_pk_fma_f32 v[22:23], v[60:61], s[14:15], v[30:31] op_sel:[1,0,0]
	v_pk_add_f32 v[8:9], v[26:27], v[8:9]
	s_mov_b32 s52, s39
	v_pk_add_f32 v[8:9], v[22:23], v[8:9]
	v_pk_fma_f32 v[22:23], v[66:67], s[18:19], v[32:33] op_sel:[1,0,0]
	s_mov_b32 s53, s31
	v_pk_add_f32 v[52:53], v[22:23], v[8:9]
	v_mov_b32_e32 v8, v10
	v_mov_b32_e32 v9, v46
	v_mov_b32_e32 v22, v12
	v_mov_b32_e32 v23, v44
	v_pk_add_f32 v[32:33], v[8:9], v[22:23]
	v_pk_add_f32 v[24:25], v[8:9], v[22:23] neg_lo:[0,1] neg_hi:[0,1]
	v_mov_b32_e32 v8, v11
	v_mov_b32_e32 v9, v21
	;; [unrolled: 1-line block ×4, first 2 shown]
	v_pk_add_f32 v[34:35], v[8:9], v[22:23]
	v_mov_b32_e32 v8, v47
	v_mov_b32_e32 v9, v20
	;; [unrolled: 1-line block ×4, first 2 shown]
	v_pk_add_f32 v[40:41], v[8:9], v[22:23] neg_lo:[0,1] neg_hi:[0,1]
	s_mov_b32 s50, s38
	s_mov_b32 s51, s9
	v_pk_mul_f32 v[30:31], v[24:25], s[52:53] op_sel:[1,0]
	s_mov_b32 s53, s38
	s_mov_b32 s38, s43
	v_pk_add_f32 v[22:23], v[36:37], v[42:43] neg_lo:[0,1] neg_hi:[0,1]
	v_pk_fma_f32 v[8:9], v[32:33], s[50:51], v[30:31] op_sel_hi:[0,1,1]
	s_mov_b32 s52, s42
	v_pk_mul_f32 v[36:37], v[40:41], s[38:39] op_sel_hi:[0,1]
	s_mov_b32 s46, s47
	s_mov_b32 s47, s21
	v_pk_add_f32 v[8:9], v[6:7], v[8:9] op_sel:[1,0]
	v_pk_fma_f32 v[28:29], v[34:35], s[52:53], v[36:37] op_sel_hi:[0,1,1]
	s_mov_b32 s38, s44
	s_mov_b32 s39, s20
	v_pk_mul_f32 v[38:39], v[40:41], s[46:47] op_sel:[1,0]
	s_mov_b32 s31, s43
	v_pk_add_f32 v[8:9], v[8:9], v[28:29]
	v_pk_fma_f32 v[28:29], v[34:35], s[38:39], v[38:39] op_sel:[1,0,0]
	s_mov_b32 s46, s20
	s_mov_b32 s47, s42
	v_pk_mul_f32 v[42:43], v[48:49], s[30:31] op_sel_hi:[0,1]
	v_pk_add_f32 v[8:9], v[8:9], v[28:29]
	v_pk_fma_f32 v[28:29], v[56:57], s[46:47], v[42:43] op_sel:[1,0,0]
	s_mov_b32 s49, s45
	v_pk_add_f32 v[26:27], v[92:93], v[6:7]
	v_pk_add_f32 v[8:9], v[28:29], v[8:9]
	s_mov_b32 s42, s9
	s_mov_b32 s43, s44
	v_pk_mul_f32 v[28:29], v[22:23], s[48:49] op_sel_hi:[0,1]
	v_pk_fma_f32 v[44:45], v[26:27], s[42:43], v[28:29] op_sel_hi:[0,1,1]
	v_pk_add_f32 v[8:9], v[8:9], v[44:45]
	v_add_u32_e32 v50, 55, v100
	v_add_f32_e32 v16, v18, v16
	s_waitcnt lgkmcnt(0)
	; wave barrier
	s_waitcnt lgkmcnt(0)
	ds_write2_b32 v101, v96, v97 offset1:1
	ds_write2_b32 v101, v98, v99 offset0:2 offset1:3
	ds_write2_b32 v101, v54, v55 offset0:4 offset1:5
	;; [unrolled: 1-line block ×3, first 2 shown]
	v_mov_b32_e32 v14, v103
	v_mov_b32_e32 v23, v102
	ds_write2_b32 v101, v103, v102 offset0:8 offset1:9
	ds_write_b32 v101, v16 offset:40
	s_and_saveexec_b64 s[30:31], s[2:3]
	s_cbranch_execz .LBB0_21
; %bb.20:
	v_mov_b32_e32 v14, v7
	v_pk_add_f32 v[104:105], v[14:15], v[10:11]
	v_mov_b32_e32 v10, v11
	v_pk_mul_f32 v[46:47], v[32:33], s[50:51] op_sel_hi:[0,1]
	v_pk_add_f32 v[10:11], v[104:105], v[10:11]
	v_mov_b32_e32 v16, v21
	v_mov_b32_e32 v33, v25
	v_pk_add_f32 v[10:11], v[10:11], v[16:17]
	v_mov_b32_e32 v16, v19
	v_pk_mul_f32 v[18:19], v[32:33], s[20:21]
	v_pk_add_f32 v[10:11], v[10:11], v[16:17]
	v_mov_b32_e32 v16, v19
	v_mov_b32_e32 v44, v32
	;; [unrolled: 1-line block ×3, first 2 shown]
	v_pk_fma_f32 v[20:21], v[32:33], s[20:21], v[16:17] neg_lo:[0,0,1] neg_hi:[0,0,1]
	v_pk_mul_f32 v[32:33], v[40:41], s[40:41]
	v_mov_b32_e32 v60, v40
	v_mov_b32_e32 v61, v40
	;; [unrolled: 1-line block ×4, first 2 shown]
	v_pk_add_f32 v[20:21], v[14:15], v[20:21]
	v_pk_fma_f32 v[40:41], v[34:35], s[14:15], v[32:33] neg_lo:[0,0,1] neg_hi:[0,0,1]
	v_pk_add_f32 v[10:11], v[10:11], v[92:93]
	v_pk_add_f32 v[20:21], v[20:21], v[40:41]
	v_pk_fma_f32 v[32:33], v[34:35], s[14:15], v[32:33]
	v_mov_b32_e32 v11, v20
	v_pk_add_f32 v[20:21], v[10:11], v[40:41]
	v_add_f32_e32 v11, v18, v19
	v_add_f32_e32 v11, v7, v11
	v_pk_mul_f32 v[58:59], v[34:35], s[52:53] op_sel_hi:[0,1]
	v_add_f32_e32 v11, v11, v32
	v_mov_b32_e32 v54, v34
	v_mov_b32_e32 v55, v34
	;; [unrolled: 1-line block ×4, first 2 shown]
	v_pk_mul_f32 v[64:65], v[34:35], s[38:39] op_sel:[1,0]
	v_add_f32_e32 v11, v11, v33
	v_mul_f32_e32 v33, 0xbf0a6770, v48
	v_pk_add_f32 v[34:35], v[46:47], v[30:31] neg_lo:[0,1] neg_hi:[0,1]
	v_mov_b32_e32 v47, v58
	v_mov_b32_e32 v31, v36
	v_fmamk_f32 v16, v57, 0x3f575c64, v33
	v_pk_add_f32 v[30:31], v[46:47], v[30:31] neg_lo:[0,1] neg_hi:[0,1]
	v_add_f32_e32 v16, v16, v11
	v_pk_add_f32 v[40:41], v[58:59], v[36:37] neg_lo:[0,1] neg_hi:[0,1]
	v_pk_add_f32 v[36:37], v[14:15], v[30:31]
	v_mov_b32_e32 v14, v31
	v_mov_b32_e32 v11, v35
	v_mov_b32_e32 v52, v7
	v_mov_b32_e32 v53, v7
	v_pk_mul_f32 v[96:97], v[56:57], s[46:47] op_sel:[1,0]
	v_pk_add_f32 v[30:31], v[36:37], v[14:15]
	v_pk_add_f32 v[36:37], v[64:65], v[38:39] neg_lo:[0,1] neg_hi:[0,1]
	v_pk_add_f32 v[6:7], v[10:11], v[6:7]
	v_mov_b32_e32 v40, v17
	v_pk_add_f32 v[38:39], v[96:97], v[42:43] neg_lo:[0,1] neg_hi:[0,1]
	v_pk_add_f32 v[6:7], v[40:41], v[6:7]
	v_mov_b32_e32 v10, v15
	v_mov_b32_e32 v11, v37
	v_pk_mul_f32 v[102:103], v[26:27], s[42:43] op_sel_hi:[0,1]
	v_pk_add_f32 v[6:7], v[10:11], v[6:7]
	v_mov_b32_e32 v10, v13
	v_mov_b32_e32 v11, v39
	v_pk_add_f32 v[6:7], v[10:11], v[6:7]
	v_pk_add_f32 v[10:11], v[102:103], v[28:29] neg_lo:[0,1] neg_hi:[0,1]
	v_mul_f32_e32 v19, 0x3f575c64, v57
	v_mov_b32_e32 v13, v11
	v_mov_b32_e32 v18, v30
	;; [unrolled: 1-line block ×3, first 2 shown]
	v_pk_add_f32 v[6:7], v[12:13], v[6:7]
	v_pk_add_f32 v[10:11], v[30:31], v[36:37]
	v_pk_add_f32 v[12:13], v[18:19], v[32:33] neg_lo:[0,1] neg_hi:[0,1]
	v_mul_f32_e32 v103, 0xbf27a4f4, v26
	v_mul_f32_e32 v29, 0xbf4178ce, v22
	v_mov_b32_e32 v11, v13
	v_mov_b32_e32 v39, v21
	;; [unrolled: 1-line block ×3, first 2 shown]
	v_pk_add_f32 v[10:11], v[10:11], v[38:39]
	v_pk_add_f32 v[12:13], v[102:103], v[28:29] neg_lo:[0,1] neg_hi:[0,1]
	v_fmac_f32_e32 v29, 0xbf27a4f4, v26
	v_pk_add_f32 v[10:11], v[10:11], v[12:13]
	v_pk_mul_f32 v[12:13], v[24:25], s[24:25]
	v_mov_b32_e32 v98, v26
	v_mov_b32_e32 v99, v26
	v_add_f32_e32 v26, v16, v29
	v_pk_fma_f32 v[14:15], v[44:45], s[12:13], v[12:13] neg_lo:[0,0,1] neg_hi:[0,0,1]
	v_pk_mul_f32 v[16:17], v[60:61], s[26:27]
	v_pk_add_f32 v[14:15], v[52:53], v[14:15]
	v_pk_fma_f32 v[18:19], v[54:55], s[8:9], v[16:17] neg_lo:[0,0,1] neg_hi:[0,0,1]
	v_pk_fma_f32 v[12:13], v[44:45], s[12:13], v[12:13]
	v_pk_add_f32 v[14:15], v[14:15], v[18:19]
	v_pk_mul_f32 v[18:19], v[66:67], s[28:29]
	v_mov_b32_e32 v49, v48
	v_pk_fma_f32 v[20:21], v[62:63], s[22:23], v[18:19] neg_lo:[0,0,1] neg_hi:[0,0,1]
	v_pk_add_f32 v[12:13], v[52:53], v[12:13]
	v_pk_fma_f32 v[16:17], v[54:55], s[8:9], v[16:17]
	v_mov_b32_e32 v68, v57
	v_mov_b32_e32 v69, v57
	;; [unrolled: 1-line block ×3, first 2 shown]
	v_pk_add_f32 v[14:15], v[14:15], v[20:21]
	v_pk_mul_f32 v[20:21], v[48:49], s[34:35]
	v_pk_add_f32 v[12:13], v[12:13], v[16:17]
	v_pk_fma_f32 v[16:17], v[62:63], s[22:23], v[18:19]
	v_pk_mul_f32 v[22:23], v[22:23], s[36:37]
	v_pk_add_f32 v[12:13], v[12:13], v[16:17]
	v_pk_fma_f32 v[16:17], v[68:69], s[14:15], v[20:21]
	v_pk_fma_f32 v[24:25], v[68:69], s[14:15], v[20:21] neg_lo:[0,0,1] neg_hi:[0,0,1]
	v_pk_add_f32 v[12:13], v[16:17], v[12:13]
	v_pk_fma_f32 v[16:17], v[98:99], s[18:19], v[22:23]
	v_pk_add_f32 v[14:15], v[24:25], v[14:15]
	v_pk_fma_f32 v[24:25], v[98:99], s[18:19], v[22:23] neg_lo:[0,0,1] neg_hi:[0,0,1]
	v_pk_add_f32 v[12:13], v[12:13], v[16:17]
	v_mad_u32_u24 v16, v50, 44, 0
	v_pk_add_f32 v[14:15], v[14:15], v[24:25]
	ds_write2_b32 v16, v6, v7 offset1:1
	ds_write2_b32 v16, v10, v11 offset0:2 offset1:3
	ds_write2_b32 v16, v14, v15 offset0:4 offset1:5
	;; [unrolled: 1-line block ×3, first 2 shown]
	ds_write_b32 v16, v26 offset:32
	ds_write2_b32 v16, v8, v9 offset0:9 offset1:10
.LBB0_21:
	s_or_b64 exec, exec, s[30:31]
	v_add_u32_e32 v10, 0x200, v94
	s_waitcnt lgkmcnt(0)
	; wave barrier
	s_waitcnt lgkmcnt(0)
	ds_read2_b32 v[22:23], v10 offset0:103 offset1:158
	v_add_u32_e32 v10, 0x600, v94
	v_add_u32_e32 v12, 0x800, v94
	;; [unrolled: 1-line block ×4, first 2 shown]
	ds_read2_b32 v[6:7], v94 offset1:55
	ds_read2_b32 v[24:25], v10 offset0:78 offset1:133
	ds_read2_b32 v[26:27], v12 offset0:181 offset1:236
	ds_read2_b32 v[28:29], v13 offset0:156 offset1:211
	ds_read2_b32 v[10:11], v94 offset0:110 offset1:165
	ds_read2_b32 v[20:21], v14 offset0:85 offset1:140
	ds_read2_b32 v[18:19], v12 offset0:60 offset1:115
	ds_read2_b32 v[16:17], v13 offset0:35 offset1:90
	v_add_u32_e32 v12, 0x1000, v94
	ds_read2_b32 v[14:15], v12 offset0:10 offset1:65
                                        ; implicit-def: $vgpr39
                                        ; implicit-def: $vgpr13
	s_and_saveexec_b64 s[2:3], s[0:1]
	s_cbranch_execz .LBB0_23
; %bb.22:
	v_add_u32_e32 v8, 0x340, v94
	v_add_u32_e32 v12, 0xa80, v94
	ds_read2_b32 v[8:9], v8 offset0:12 offset1:243
	ds_read2_b32 v[12:13], v12 offset0:10 offset1:241
	ds_read_b32 v39, v94 offset:4576
.LBB0_23:
	s_or_b64 exec, exec, s[2:3]
	s_movk_i32 s2, 0x75
	v_mul_lo_u16_sdwa v30, v100, s2 dst_sel:DWORD dst_unused:UNUSED_PAD src0_sel:BYTE_0 src1_sel:DWORD
	v_sub_u16_sdwa v31, v100, v30 dst_sel:DWORD dst_unused:UNUSED_PAD src0_sel:DWORD src1_sel:BYTE_1
	v_lshrrev_b16_e32 v31, 1, v31
	v_and_b32_e32 v31, 0x7f, v31
	v_add_u16_sdwa v30, v31, v30 dst_sel:DWORD dst_unused:UNUSED_PAD src0_sel:DWORD src1_sel:BYTE_1
	v_lshrrev_b16_e32 v92, 3, v30
	v_mul_lo_u16_e32 v30, 11, v92
	v_sub_u16_e32 v34, v100, v30
	v_mov_b32_e32 v35, 5
	v_lshlrev_b32_sdwa v36, v35, v34 dst_sel:DWORD dst_unused:UNUSED_PAD src0_sel:DWORD src1_sel:BYTE_0
	global_load_dwordx4 v[30:33], v36, s[4:5] offset:16
	global_load_dwordx4 v[58:61], v36, s[4:5]
	v_mul_lo_u16_sdwa v36, v50, s2 dst_sel:DWORD dst_unused:UNUSED_PAD src0_sel:BYTE_0 src1_sel:DWORD
	v_sub_u16_sdwa v37, v50, v36 dst_sel:DWORD dst_unused:UNUSED_PAD src0_sel:DWORD src1_sel:BYTE_1
	v_lshrrev_b16_e32 v37, 1, v37
	v_and_b32_e32 v37, 0x7f, v37
	v_add_u16_sdwa v36, v37, v36 dst_sel:DWORD dst_unused:UNUSED_PAD src0_sel:DWORD src1_sel:BYTE_1
	v_lshrrev_b16_e32 v93, 3, v36
	v_mul_lo_u16_e32 v36, 11, v93
	v_sub_u16_e32 v36, v50, v36
	v_lshlrev_b32_sdwa v37, v35, v36 dst_sel:DWORD dst_unused:UNUSED_PAD src0_sel:DWORD src1_sel:BYTE_0
	v_add_u32_e32 v48, 0x6e, v100
	global_load_dwordx4 v[62:65], v37, s[4:5]
	global_load_dwordx4 v[66:69], v37, s[4:5] offset:16
	v_mul_lo_u16_sdwa v37, v48, s2 dst_sel:DWORD dst_unused:UNUSED_PAD src0_sel:BYTE_0 src1_sel:DWORD
	v_sub_u16_sdwa v38, v48, v37 dst_sel:DWORD dst_unused:UNUSED_PAD src0_sel:DWORD src1_sel:BYTE_1
	v_lshrrev_b16_e32 v38, 1, v38
	v_and_b32_e32 v38, 0x7f, v38
	v_add_u16_sdwa v37, v38, v37 dst_sel:DWORD dst_unused:UNUSED_PAD src0_sel:DWORD src1_sel:BYTE_1
	v_lshrrev_b16_e32 v101, 3, v37
	v_mul_lo_u16_e32 v37, 11, v101
	v_sub_u16_e32 v37, v48, v37
	v_lshlrev_b32_sdwa v38, v35, v37 dst_sel:DWORD dst_unused:UNUSED_PAD src0_sel:DWORD src1_sel:BYTE_0
	v_add_u32_e32 v46, 0xa5, v100
	global_load_dwordx4 v[96:99], v38, s[4:5]
	global_load_dwordx4 v[102:105], v38, s[4:5] offset:16
	v_mul_lo_u16_sdwa v38, v46, s2 dst_sel:DWORD dst_unused:UNUSED_PAD src0_sel:BYTE_0 src1_sel:DWORD
	v_sub_u16_sdwa v40, v46, v38 dst_sel:DWORD dst_unused:UNUSED_PAD src0_sel:DWORD src1_sel:BYTE_1
	v_lshrrev_b16_e32 v40, 1, v40
	v_and_b32_e32 v40, 0x7f, v40
	v_add_u16_sdwa v38, v40, v38 dst_sel:DWORD dst_unused:UNUSED_PAD src0_sel:DWORD src1_sel:BYTE_1
	v_lshrrev_b16_e32 v122, 3, v38
	v_mul_lo_u16_e32 v38, 11, v122
	v_sub_u16_e32 v38, v46, v38
	v_lshlrev_b32_sdwa v35, v35, v38 dst_sel:DWORD dst_unused:UNUSED_PAD src0_sel:DWORD src1_sel:BYTE_0
	v_add_u32_e32 v42, 0xdc, v100
	s_mov_b32 s2, 0xba2f
	global_load_dwordx4 v[106:109], v35, s[4:5]
	global_load_dwordx4 v[110:113], v35, s[4:5] offset:16
	v_mul_u32_u24_sdwa v35, v42, s2 dst_sel:DWORD dst_unused:UNUSED_PAD src0_sel:WORD_0 src1_sel:DWORD
	v_lshrrev_b32_e32 v35, 19, v35
	v_mul_lo_u16_e32 v35, 11, v35
	v_sub_u16_e32 v123, v42, v35
	v_lshlrev_b32_e32 v35, 5, v123
	global_load_dwordx4 v[114:117], v35, s[4:5]
	global_load_dwordx4 v[118:121], v35, s[4:5] offset:16
	v_mov_b32_e32 v40, 2
	v_lshlrev_b32_sdwa v125, v40, v36 dst_sel:DWORD dst_unused:UNUSED_PAD src0_sel:DWORD src1_sel:BYTE_0
	v_lshlrev_b32_sdwa v124, v40, v34 dst_sel:DWORD dst_unused:UNUSED_PAD src0_sel:DWORD src1_sel:BYTE_0
	s_waitcnt lgkmcnt(0)
	; wave barrier
	s_waitcnt vmcnt(9) lgkmcnt(0)
	v_mul_f32_e32 v56, v26, v31
	s_waitcnt vmcnt(8)
	v_mul_f32_e32 v36, v84, v59
	v_mul_f32_e32 v53, v22, v59
	;; [unrolled: 1-line block ×3, first 2 shown]
	v_fma_f32 v49, v22, v58, -v36
	v_mul_f32_e32 v57, v28, v33
	v_mul_f32_e32 v33, v90, v33
	v_fma_f32 v52, v26, v30, -v31
	v_mul_f32_e32 v41, v86, v61
	v_fmac_f32_e32 v56, v88, v30
	v_fmac_f32_e32 v57, v90, v32
	s_waitcnt vmcnt(7)
	v_mul_f32_e32 v43, v85, v63
	s_waitcnt vmcnt(6)
	v_mul_f32_e32 v59, v89, v67
	v_mul_f32_e32 v34, v23, v63
	;; [unrolled: 1-line block ×3, first 2 shown]
	v_fma_f32 v55, v28, v32, -v33
	v_fma_f32 v30, v23, v62, -v43
	;; [unrolled: 1-line block ×3, first 2 shown]
	v_mul_f32_e32 v54, v24, v61
	v_mul_f32_e32 v44, v87, v65
	;; [unrolled: 1-line block ×3, first 2 shown]
	v_fma_f32 v51, v24, v60, -v41
	s_waitcnt vmcnt(5)
	v_mul_f32_e32 v22, v82, v97
	v_mul_f32_e32 v26, v20, v97
	v_fma_f32 v22, v20, v96, -v22
	v_mul_f32_e32 v20, v80, v99
	v_mul_f32_e32 v27, v18, v99
	v_fma_f32 v23, v18, v98, -v20
	s_waitcnt vmcnt(4)
	v_mul_f32_e32 v18, v78, v103
	v_mul_f32_e32 v28, v16, v103
	v_fma_f32 v24, v16, v102, -v18
	v_mul_f32_e32 v16, v76, v105
	v_mul_f32_e32 v35, v25, v65
	;; [unrolled: 1-line block ×3, first 2 shown]
	v_fmac_f32_e32 v53, v84, v58
	v_fmac_f32_e32 v34, v85, v62
	v_fma_f32 v31, v25, v64, -v44
	v_fma_f32 v36, v29, v68, -v61
	v_lshlrev_b32_sdwa v58, v40, v37 dst_sel:DWORD dst_unused:UNUSED_PAD src0_sel:DWORD src1_sel:BYTE_0
	v_mul_f32_e32 v29, v14, v105
	v_fma_f32 v25, v14, v104, -v16
	v_lshlrev_b32_sdwa v62, v40, v38 dst_sel:DWORD dst_unused:UNUSED_PAD src0_sel:DWORD src1_sel:BYTE_0
	s_waitcnt vmcnt(3)
	v_mul_f32_e32 v14, v83, v107
	s_waitcnt vmcnt(1)
	v_mul_f32_e32 v40, v9, v115
	v_fmac_f32_e32 v54, v86, v60
	v_mul_f32_e32 v18, v21, v107
	v_fma_f32 v14, v21, v106, -v14
	v_mul_f32_e32 v16, v81, v109
	v_mul_f32_e32 v21, v79, v111
	;; [unrolled: 1-line block ×3, first 2 shown]
	v_fmac_f32_e32 v40, v1, v114
	v_mul_f32_e32 v1, v1, v115
	v_mul_f32_e32 v20, v19, v109
	v_fma_f32 v16, v19, v108, -v16
	v_mul_f32_e32 v19, v17, v111
	v_fma_f32 v17, v17, v110, -v21
	;; [unrolled: 2-line block ×3, first 2 shown]
	v_fma_f32 v33, v9, v114, -v1
	v_mul_f32_e32 v1, v74, v117
	v_add_f32_e32 v9, v54, v56
	v_mul_f32_e32 v41, v12, v117
	v_fma_f32 v37, v12, v116, -v1
	s_waitcnt vmcnt(0)
	v_mul_f32_e32 v1, v75, v119
	v_fma_f32 v9, -0.5, v9, v72
	v_sub_f32_e32 v12, v49, v55
	v_mul_f32_e32 v43, v13, v119
	v_fma_f32 v38, v13, v118, -v1
	v_fmamk_f32 v13, v12, 0xbf737871, v9
	v_sub_f32_e32 v59, v51, v52
	v_sub_f32_e32 v60, v53, v54
	;; [unrolled: 1-line block ×3, first 2 shown]
	v_fmac_f32_e32 v9, 0x3f737871, v12
	v_fmac_f32_e32 v13, 0xbf167918, v59
	v_add_f32_e32 v60, v60, v61
	v_fmac_f32_e32 v9, 0x3f167918, v59
	v_fmac_f32_e32 v13, 0x3e9e377a, v60
	;; [unrolled: 1-line block ×3, first 2 shown]
	v_add_f32_e32 v60, v53, v57
	v_fma_f32 v60, -0.5, v60, v72
	v_fmac_f32_e32 v35, v87, v64
	v_fmac_f32_e32 v45, v89, v66
	v_fmamk_f32 v61, v59, 0x3f737871, v60
	v_sub_f32_e32 v63, v54, v53
	v_sub_f32_e32 v64, v56, v57
	v_fmac_f32_e32 v60, 0xbf737871, v59
	v_fmac_f32_e32 v61, 0xbf167918, v12
	v_add_f32_e32 v63, v63, v64
	v_fmac_f32_e32 v60, 0x3f167918, v12
	v_add_f32_e32 v59, v35, v45
	v_fmac_f32_e32 v47, v91, v68
	v_fmac_f32_e32 v61, 0x3e9e377a, v63
	;; [unrolled: 1-line block ×3, first 2 shown]
	v_fma_f32 v63, -0.5, v59, v73
	v_sub_f32_e32 v59, v30, v36
	v_fmamk_f32 v64, v59, 0xbf737871, v63
	v_sub_f32_e32 v65, v31, v32
	v_sub_f32_e32 v66, v34, v35
	;; [unrolled: 1-line block ×3, first 2 shown]
	v_fmac_f32_e32 v63, 0x3f737871, v59
	v_fmac_f32_e32 v64, 0xbf167918, v65
	v_add_f32_e32 v66, v66, v67
	v_fmac_f32_e32 v63, 0x3f167918, v65
	v_fmac_f32_e32 v64, 0x3e9e377a, v66
	;; [unrolled: 1-line block ×3, first 2 shown]
	v_add_f32_e32 v66, v34, v47
	v_add_f32_e32 v12, v73, v34
	v_fmac_f32_e32 v73, -0.5, v66
	v_fmac_f32_e32 v26, v82, v96
	v_fmamk_f32 v66, v65, 0x3f737871, v73
	v_fmac_f32_e32 v73, 0xbf737871, v65
	v_fmac_f32_e32 v27, v80, v98
	;; [unrolled: 1-line block ×4, first 2 shown]
	v_add_f32_e32 v59, v70, v26
	v_fmac_f32_e32 v28, v78, v102
	v_add_f32_e32 v59, v59, v27
	v_fmac_f32_e32 v29, v76, v104
	v_sub_f32_e32 v67, v35, v34
	v_sub_f32_e32 v68, v45, v47
	v_add_f32_e32 v59, v59, v28
	v_add_f32_e32 v67, v67, v68
	;; [unrolled: 1-line block ×4, first 2 shown]
	v_mul_f32_e32 v1, v95, v121
	v_fmac_f32_e32 v66, 0x3e9e377a, v67
	v_fmac_f32_e32 v73, 0x3e9e377a, v67
	v_fma_f32 v67, -0.5, v59, v70
	v_sub_f32_e32 v59, v22, v25
	v_fmac_f32_e32 v41, v74, v116
	v_mul_f32_e32 v44, v39, v121
	v_fma_f32 v39, v39, v120, -v1
	v_add_f32_e32 v1, v72, v53
	v_fmamk_f32 v68, v59, 0xbf737871, v67
	v_sub_f32_e32 v69, v23, v24
	v_sub_f32_e32 v72, v26, v27
	;; [unrolled: 1-line block ×3, first 2 shown]
	v_fmac_f32_e32 v67, 0x3f737871, v59
	v_fmac_f32_e32 v68, 0xbf167918, v69
	v_add_f32_e32 v72, v72, v74
	v_fmac_f32_e32 v67, 0x3f167918, v69
	v_fmac_f32_e32 v68, 0x3e9e377a, v72
	;; [unrolled: 1-line block ×3, first 2 shown]
	v_add_f32_e32 v72, v26, v29
	v_fma_f32 v70, -0.5, v72, v70
	v_fmac_f32_e32 v18, v83, v106
	v_fmamk_f32 v72, v69, 0x3f737871, v70
	v_fmac_f32_e32 v70, 0xbf737871, v69
	v_fmac_f32_e32 v20, v81, v108
	v_fmac_f32_e32 v72, 0xbf167918, v59
	v_fmac_f32_e32 v70, 0x3f167918, v59
	v_add_f32_e32 v59, v71, v18
	v_fmac_f32_e32 v19, v79, v110
	v_add_f32_e32 v59, v59, v20
	v_fmac_f32_e32 v21, v77, v112
	v_fmac_f32_e32 v43, v75, v118
	v_sub_f32_e32 v74, v27, v26
	v_sub_f32_e32 v75, v28, v29
	v_add_f32_e32 v59, v59, v19
	v_add_f32_e32 v74, v74, v75
	;; [unrolled: 1-line block ×4, first 2 shown]
	v_fmac_f32_e32 v72, 0x3e9e377a, v74
	v_fmac_f32_e32 v70, 0x3e9e377a, v74
	v_fma_f32 v74, -0.5, v59, v71
	v_sub_f32_e32 v59, v14, v15
	v_fmamk_f32 v75, v59, 0xbf737871, v74
	v_sub_f32_e32 v76, v16, v17
	v_sub_f32_e32 v77, v18, v20
	;; [unrolled: 1-line block ×3, first 2 shown]
	v_fmac_f32_e32 v74, 0x3f737871, v59
	v_fmac_f32_e32 v75, 0xbf167918, v76
	v_add_f32_e32 v77, v77, v78
	v_fmac_f32_e32 v74, 0x3f167918, v76
	v_fmac_f32_e32 v75, 0x3e9e377a, v77
	;; [unrolled: 1-line block ×3, first 2 shown]
	v_add_f32_e32 v77, v18, v21
	v_fmac_f32_e32 v71, -0.5, v77
	v_add_f32_e32 v1, v1, v54
	v_fmamk_f32 v77, v76, 0x3f737871, v71
	v_fmac_f32_e32 v71, 0xbf737871, v76
	v_add_f32_e32 v1, v1, v56
	v_fmac_f32_e32 v77, 0xbf167918, v59
	v_fmac_f32_e32 v71, 0x3f167918, v59
	v_mul_u32_u24_e32 v59, 0xdc, v92
	v_add_f32_e32 v1, v1, v57
	v_add3_u32 v59, 0, v59, v124
	ds_write2_b32 v59, v1, v13 offset1:11
	ds_write2_b32 v59, v61, v60 offset0:22 offset1:33
	ds_write_b32 v59, v9 offset:176
	v_mul_u32_u24_e32 v1, 0xdc, v93
	v_add_f32_e32 v12, v12, v35
	v_add3_u32 v60, 0, v1, v125
	v_mul_u32_u24_e32 v1, 0xdc, v101
	v_add_f32_e32 v12, v12, v45
	v_sub_f32_e32 v78, v20, v18
	v_sub_f32_e32 v79, v19, v21
	v_add3_u32 v61, 0, v1, v58
	v_mul_u32_u24_e32 v1, 0xdc, v122
	v_fmac_f32_e32 v44, v95, v120
	v_add_f32_e32 v12, v12, v47
	v_add_f32_e32 v78, v78, v79
	v_add3_u32 v62, 0, v1, v62
	v_lshl_add_u32 v58, v123, 2, 0
	v_fmac_f32_e32 v77, 0x3e9e377a, v78
	v_fmac_f32_e32 v71, 0x3e9e377a, v78
	ds_write2_b32 v60, v12, v64 offset1:11
	ds_write2_b32 v60, v66, v73 offset0:22 offset1:33
	ds_write_b32 v60, v63 offset:176
	ds_write2_b32 v61, v65, v68 offset1:11
	ds_write2_b32 v61, v72, v70 offset0:22 offset1:33
	ds_write_b32 v61, v67 offset:176
	;; [unrolled: 3-line block ×3, first 2 shown]
	s_and_saveexec_b64 s[2:3], s[0:1]
	s_cbranch_execz .LBB0_25
; %bb.24:
	v_add_f32_e32 v12, v40, v44
	v_sub_f32_e32 v1, v41, v40
	v_sub_f32_e32 v9, v43, v44
	v_fma_f32 v12, -0.5, v12, v0
	v_sub_f32_e32 v13, v37, v38
	v_add_f32_e32 v1, v1, v9
	v_sub_f32_e32 v9, v33, v39
	v_fmamk_f32 v63, v13, 0xbf737871, v12
	v_fmac_f32_e32 v12, 0x3f737871, v13
	v_fmac_f32_e32 v63, 0x3f167918, v9
	;; [unrolled: 1-line block ×5, first 2 shown]
	v_sub_f32_e32 v1, v40, v41
	v_sub_f32_e32 v64, v44, v43
	v_add_f32_e32 v1, v1, v64
	v_add_f32_e32 v64, v41, v43
	v_fma_f32 v64, -0.5, v64, v0
	v_add_f32_e32 v0, v0, v40
	v_fmamk_f32 v65, v9, 0x3f737871, v64
	v_fmac_f32_e32 v64, 0xbf737871, v9
	v_add_f32_e32 v0, v0, v41
	v_fmac_f32_e32 v65, 0x3f167918, v13
	v_fmac_f32_e32 v64, 0xbf167918, v13
	v_add_f32_e32 v0, v0, v43
	v_fmac_f32_e32 v65, 0x3e9e377a, v1
	v_fmac_f32_e32 v64, 0x3e9e377a, v1
	v_add_f32_e32 v0, v0, v44
	v_add_u32_e32 v1, 0x1000, v58
	ds_write2_b32 v1, v0, v64 offset0:76 offset1:87
	ds_write2_b32 v1, v12, v63 offset0:98 offset1:109
	ds_write_b32 v58, v65 offset:4576
.LBB0_25:
	s_or_b64 exec, exec, s[2:3]
	v_add_f32_e32 v0, v6, v49
	v_add_f32_e32 v0, v0, v51
	;; [unrolled: 1-line block ×5, first 2 shown]
	v_fma_f32 v64, -0.5, v0, v6
	v_sub_f32_e32 v0, v53, v57
	v_fmamk_f32 v53, v0, 0x3f737871, v64
	v_sub_f32_e32 v1, v54, v56
	v_sub_f32_e32 v9, v49, v51
	;; [unrolled: 1-line block ×3, first 2 shown]
	v_fmac_f32_e32 v64, 0xbf737871, v0
	v_fmac_f32_e32 v53, 0x3f167918, v1
	v_add_f32_e32 v9, v9, v12
	v_fmac_f32_e32 v64, 0xbf167918, v1
	v_fmac_f32_e32 v53, 0x3e9e377a, v9
	;; [unrolled: 1-line block ×3, first 2 shown]
	v_add_f32_e32 v9, v49, v55
	v_fma_f32 v6, -0.5, v9, v6
	v_fmamk_f32 v54, v1, 0xbf737871, v6
	v_fmac_f32_e32 v6, 0x3f737871, v1
	v_fmac_f32_e32 v54, 0x3f167918, v0
	;; [unrolled: 1-line block ×3, first 2 shown]
	v_add_f32_e32 v0, v7, v30
	v_add_f32_e32 v0, v0, v31
	;; [unrolled: 1-line block ×3, first 2 shown]
	v_sub_f32_e32 v9, v51, v49
	v_sub_f32_e32 v12, v52, v55
	v_add_f32_e32 v49, v0, v36
	v_add_f32_e32 v0, v31, v32
	;; [unrolled: 1-line block ×3, first 2 shown]
	v_fma_f32 v51, -0.5, v0, v7
	v_sub_f32_e32 v0, v34, v47
	v_fmac_f32_e32 v54, 0x3e9e377a, v9
	v_fmac_f32_e32 v6, 0x3e9e377a, v9
	v_fmamk_f32 v47, v0, 0x3f737871, v51
	v_sub_f32_e32 v1, v35, v45
	v_sub_f32_e32 v9, v30, v31
	;; [unrolled: 1-line block ×3, first 2 shown]
	v_fmac_f32_e32 v51, 0xbf737871, v0
	v_fmac_f32_e32 v47, 0x3f167918, v1
	v_add_f32_e32 v9, v9, v12
	v_fmac_f32_e32 v51, 0xbf167918, v1
	v_fmac_f32_e32 v47, 0x3e9e377a, v9
	;; [unrolled: 1-line block ×3, first 2 shown]
	v_add_f32_e32 v9, v30, v36
	v_fmac_f32_e32 v7, -0.5, v9
	v_fmamk_f32 v52, v1, 0xbf737871, v7
	v_fmac_f32_e32 v7, 0x3f737871, v1
	v_fmac_f32_e32 v52, 0x3f167918, v0
	;; [unrolled: 1-line block ×3, first 2 shown]
	v_add_f32_e32 v0, v10, v22
	v_add_f32_e32 v0, v0, v23
	;; [unrolled: 1-line block ×3, first 2 shown]
	v_sub_f32_e32 v9, v31, v30
	v_sub_f32_e32 v12, v32, v36
	v_add_f32_e32 v55, v0, v25
	v_add_f32_e32 v0, v23, v24
	;; [unrolled: 1-line block ×3, first 2 shown]
	v_fma_f32 v56, -0.5, v0, v10
	v_sub_f32_e32 v0, v26, v29
	v_fmac_f32_e32 v52, 0x3e9e377a, v9
	v_fmac_f32_e32 v7, 0x3e9e377a, v9
	v_fmamk_f32 v57, v0, 0x3f737871, v56
	v_sub_f32_e32 v1, v27, v28
	v_sub_f32_e32 v9, v22, v23
	;; [unrolled: 1-line block ×3, first 2 shown]
	v_fmac_f32_e32 v56, 0xbf737871, v0
	v_fmac_f32_e32 v57, 0x3f167918, v1
	v_add_f32_e32 v9, v9, v12
	v_fmac_f32_e32 v56, 0xbf167918, v1
	v_fmac_f32_e32 v57, 0x3e9e377a, v9
	;; [unrolled: 1-line block ×3, first 2 shown]
	v_add_f32_e32 v9, v22, v25
	v_fma_f32 v65, -0.5, v9, v10
	v_fmamk_f32 v66, v1, 0xbf737871, v65
	v_fmac_f32_e32 v65, 0x3f737871, v1
	v_fmac_f32_e32 v66, 0x3f167918, v0
	v_fmac_f32_e32 v65, 0xbf167918, v0
	v_add_f32_e32 v0, v11, v14
	v_add_f32_e32 v0, v0, v16
	;; [unrolled: 1-line block ×3, first 2 shown]
	v_sub_f32_e32 v9, v23, v22
	v_sub_f32_e32 v10, v24, v25
	v_add_f32_e32 v67, v0, v15
	v_add_f32_e32 v0, v16, v17
	;; [unrolled: 1-line block ×3, first 2 shown]
	v_fma_f32 v68, -0.5, v0, v11
	v_sub_f32_e32 v0, v18, v21
	v_fmac_f32_e32 v66, 0x3e9e377a, v9
	v_fmac_f32_e32 v65, 0x3e9e377a, v9
	v_fmamk_f32 v69, v0, 0x3f737871, v68
	v_sub_f32_e32 v1, v20, v19
	v_sub_f32_e32 v9, v14, v16
	;; [unrolled: 1-line block ×3, first 2 shown]
	v_fmac_f32_e32 v68, 0xbf737871, v0
	v_fmac_f32_e32 v69, 0x3f167918, v1
	v_add_f32_e32 v9, v9, v10
	v_fmac_f32_e32 v68, 0xbf167918, v1
	v_fmac_f32_e32 v69, 0x3e9e377a, v9
	;; [unrolled: 1-line block ×3, first 2 shown]
	v_add_f32_e32 v9, v14, v15
	v_fmac_f32_e32 v11, -0.5, v9
	v_fmamk_f32 v70, v1, 0xbf737871, v11
	v_sub_f32_e32 v9, v16, v14
	v_sub_f32_e32 v10, v17, v15
	v_fmac_f32_e32 v11, 0x3f737871, v1
	v_fmac_f32_e32 v70, 0x3f167918, v0
	v_add_f32_e32 v9, v9, v10
	v_fmac_f32_e32 v11, 0xbf167918, v0
	v_fmac_f32_e32 v70, 0x3e9e377a, v9
	;; [unrolled: 1-line block ×3, first 2 shown]
	v_lshl_add_u32 v30, v100, 2, 0
	v_add_u32_e32 v9, 0x600, v94
	v_add_u32_e32 v31, 0x800, v94
	;; [unrolled: 1-line block ×7, first 2 shown]
	s_waitcnt lgkmcnt(0)
	; wave barrier
	s_waitcnt lgkmcnt(0)
	ds_read2_b32 v[12:13], v94 offset1:55
	ds_read2_b32 v[0:1], v94 offset0:110 offset1:165
	ds_read_b32 v45, v30 offset:1320
	ds_read2_b32 v[26:27], v9 offset0:111 offset1:166
	ds_read2_b32 v[18:19], v31 offset0:93 offset1:148
	;; [unrolled: 1-line block ×8, first 2 shown]
	s_waitcnt lgkmcnt(0)
	; wave barrier
	s_waitcnt lgkmcnt(0)
	ds_write2_b32 v59, v63, v53 offset1:11
	ds_write2_b32 v59, v54, v6 offset0:22 offset1:33
	ds_write_b32 v59, v64 offset:176
	ds_write2_b32 v60, v49, v47 offset1:11
	ds_write2_b32 v60, v52, v7 offset0:22 offset1:33
	ds_write_b32 v60, v51 offset:176
	;; [unrolled: 3-line block ×4, first 2 shown]
	s_and_saveexec_b64 s[2:3], s[0:1]
	s_cbranch_execz .LBB0_27
; %bb.26:
	v_add_f32_e32 v7, v37, v38
	v_fma_f32 v7, -0.5, v7, v8
	v_sub_f32_e32 v11, v40, v44
	v_fmamk_f32 v40, v11, 0x3f737871, v7
	v_sub_f32_e32 v41, v41, v43
	v_sub_f32_e32 v43, v33, v37
	;; [unrolled: 1-line block ×3, first 2 shown]
	v_fmac_f32_e32 v7, 0xbf737871, v11
	v_fmac_f32_e32 v40, 0x3f167918, v41
	v_add_f32_e32 v43, v43, v44
	v_fmac_f32_e32 v7, 0xbf167918, v41
	v_add_f32_e32 v6, v8, v33
	v_fmac_f32_e32 v40, 0x3e9e377a, v43
	v_fmac_f32_e32 v7, 0x3e9e377a, v43
	v_add_f32_e32 v43, v33, v39
	v_add_f32_e32 v6, v6, v37
	v_fmac_f32_e32 v8, -0.5, v43
	v_add_f32_e32 v6, v6, v38
	v_fmamk_f32 v43, v41, 0xbf737871, v8
	v_sub_f32_e32 v33, v37, v33
	v_sub_f32_e32 v37, v38, v39
	v_fmac_f32_e32 v8, 0x3f737871, v41
	v_add_f32_e32 v6, v6, v39
	v_fmac_f32_e32 v43, 0x3f167918, v11
	v_add_f32_e32 v33, v33, v37
	v_fmac_f32_e32 v8, 0xbf167918, v11
	v_add_u32_e32 v11, 0x1000, v58
	v_fmac_f32_e32 v43, 0x3e9e377a, v33
	v_fmac_f32_e32 v8, 0x3e9e377a, v33
	ds_write2_b32 v11, v6, v40 offset0:76 offset1:87
	ds_write2_b32 v11, v43, v8 offset0:98 offset1:109
	ds_write_b32 v58, v7 offset:4576
.LBB0_27:
	s_or_b64 exec, exec, s[2:3]
	v_mul_u32_u24_e32 v6, 6, v100
	v_lshlrev_b32_e32 v6, 3, v6
	s_movk_i32 s0, 0x95
	s_waitcnt lgkmcnt(0)
	; wave barrier
	s_waitcnt lgkmcnt(0)
	global_load_dwordx4 v[38:41], v6, s[4:5] offset:352
	global_load_dwordx4 v[52:55], v6, s[4:5] offset:368
	global_load_dwordx4 v[56:59], v6, s[4:5] offset:384
	v_mul_lo_u16_sdwa v6, v48, s0 dst_sel:DWORD dst_unused:UNUSED_PAD src0_sel:BYTE_0 src1_sel:DWORD
	v_lshrrev_b16_e32 v6, 13, v6
	v_mul_lo_u16_e32 v6, 55, v6
	v_sub_u16_e32 v6, v48, v6
	v_and_b32_e32 v8, 0xff, v6
	v_mul_u32_u24_e32 v6, 6, v8
	v_lshlrev_b32_e32 v6, 3, v6
	global_load_dwordx4 v[60:63], v6, s[4:5] offset:352
	global_load_dwordx4 v[64:67], v6, s[4:5] offset:368
	;; [unrolled: 1-line block ×3, first 2 shown]
	ds_read2_b32 v[72:73], v94 offset1:55
	ds_read2_b32 v[6:7], v94 offset0:110 offset1:165
	ds_read_b32 v11, v30 offset:1320
	ds_read2_b32 v[74:75], v9 offset0:111 offset1:166
	ds_read2_b32 v[76:77], v31 offset0:93 offset1:148
	;; [unrolled: 1-line block ×8, first 2 shown]
	s_mov_b32 s0, 0xbf5ff5aa
	s_mov_b32 s1, 0x3f3bfb3b
	;; [unrolled: 1-line block ×4, first 2 shown]
	s_waitcnt lgkmcnt(0)
	; wave barrier
	s_waitcnt vmcnt(5) lgkmcnt(0)
	v_mul_f32_e32 v33, v7, v39
	v_mul_f32_e32 v37, v1, v39
	;; [unrolled: 1-line block ×4, first 2 shown]
	s_waitcnt vmcnt(4)
	v_mul_f32_e32 v47, v74, v53
	s_waitcnt vmcnt(3)
	v_mul_f32_e32 v91, v78, v57
	v_mul_f32_e32 v92, v28, v57
	;; [unrolled: 1-line block ×9, first 2 shown]
	v_fmac_f32_e32 v33, v1, v38
	v_fma_f32 v1, v7, v38, -v37
	v_fmac_f32_e32 v43, v45, v40
	v_fma_f32 v7, v11, v40, -v44
	v_fmac_f32_e32 v47, v26, v52
	v_fmac_f32_e32 v91, v28, v56
	v_fma_f32 v26, v78, v56, -v92
	v_fmac_f32_e32 v93, v15, v58
	v_fma_f32 v15, v81, v58, -v95
	;; [unrolled: 2-line block ×3, first 2 shown]
	s_waitcnt vmcnt(1)
	v_mul_f32_e32 v40, v76, v65
	v_mul_f32_e32 v41, v18, v65
	v_mul_f32_e32 v98, v75, v53
	v_mul_f32_e32 v53, v27, v53
	v_fma_f32 v11, v74, v52, -v49
	v_fmac_f32_e32 v51, v19, v54
	v_fma_f32 v19, v77, v54, -v90
	v_fmac_f32_e32 v40, v18, v64
	v_fma_f32 v18, v76, v64, -v41
	v_add_f32_e32 v41, v33, v93
	v_add_f32_e32 v45, v1, v15
	v_sub_f32_e32 v1, v1, v15
	v_add_f32_e32 v15, v43, v91
	v_add_f32_e32 v49, v7, v26
	v_mul_f32_e32 v99, v86, v55
	v_mul_f32_e32 v55, v20, v55
	;; [unrolled: 1-line block ×6, first 2 shown]
	v_fmac_f32_e32 v98, v27, v52
	v_fma_f32 v27, v75, v52, -v53
	v_sub_f32_e32 v33, v33, v93
	v_sub_f32_e32 v43, v43, v91
	;; [unrolled: 1-line block ×3, first 2 shown]
	v_add_f32_e32 v26, v47, v51
	v_add_f32_e32 v52, v11, v19
	v_sub_f32_e32 v47, v51, v47
	v_sub_f32_e32 v11, v19, v11
	v_add_f32_e32 v19, v15, v41
	v_add_f32_e32 v51, v49, v45
	v_fmac_f32_e32 v99, v20, v54
	v_fma_f32 v20, v86, v54, -v55
	v_fmac_f32_e32 v101, v29, v56
	v_fma_f32 v28, v79, v56, -v57
	;; [unrolled: 2-line block ×3, first 2 shown]
	v_sub_f32_e32 v53, v15, v41
	v_sub_f32_e32 v54, v49, v45
	;; [unrolled: 1-line block ×6, first 2 shown]
	v_add_f32_e32 v55, v47, v43
	v_add_f32_e32 v56, v11, v7
	v_sub_f32_e32 v57, v47, v43
	v_sub_f32_e32 v58, v11, v7
	;; [unrolled: 1-line block ×4, first 2 shown]
	v_add_f32_e32 v19, v26, v19
	v_add_f32_e32 v26, v52, v51
	v_sub_f32_e32 v47, v33, v47
	v_sub_f32_e32 v11, v1, v11
	v_add_f32_e32 v33, v55, v33
	v_add_f32_e32 v1, v56, v1
	;; [unrolled: 1-line block ×4, first 2 shown]
	v_mul_f32_e32 v41, 0x3f4a47b2, v41
	v_mul_f32_e32 v45, 0x3f4a47b2, v45
	;; [unrolled: 1-line block ×10, first 2 shown]
	v_fmamk_f32 v19, v19, 0xbf955555, v12
	v_fmamk_f32 v26, v26, 0xbf955555, v51
	v_fma_f32 v52, v53, s1, -v52
	v_fma_f32 v55, v54, s1, -v55
	;; [unrolled: 1-line block ×3, first 2 shown]
	v_fmac_f32_e32 v41, 0x3d64c772, v15
	v_fma_f32 v15, v54, s2, -v45
	v_fma_f32 v43, v43, s0, -v56
	v_fmac_f32_e32 v56, 0xbeae86e6, v47
	v_fma_f32 v7, v7, s0, -v57
	v_fmac_f32_e32 v57, 0xbeae86e6, v11
	v_fma_f32 v47, v47, s3, -v58
	v_fma_f32 v11, v11, s3, -v59
	v_fmac_f32_e32 v96, v22, v38
	v_fma_f32 v22, v82, v38, -v39
	v_fmac_f32_e32 v45, 0x3d64c772, v49
	v_add_f32_e32 v41, v41, v19
	v_add_f32_e32 v49, v52, v19
	;; [unrolled: 1-line block ×5, first 2 shown]
	v_fmac_f32_e32 v57, 0xbee1c552, v1
	v_fmac_f32_e32 v43, 0xbee1c552, v33
	;; [unrolled: 1-line block ×4, first 2 shown]
	v_add_f32_e32 v45, v45, v26
	v_fmac_f32_e32 v56, 0xbee1c552, v33
	v_fmac_f32_e32 v7, 0xbee1c552, v1
	v_add_f32_e32 v1, v57, v41
	v_add_f32_e32 v26, v11, v19
	v_sub_f32_e32 v54, v15, v47
	v_add_f32_e32 v55, v43, v52
	v_sub_f32_e32 v43, v52, v43
	v_sub_f32_e32 v11, v19, v11
	v_add_f32_e32 v19, v47, v15
	v_sub_f32_e32 v15, v41, v57
	v_add_f32_e32 v41, v96, v102
	v_add_f32_e32 v47, v22, v16
	v_sub_f32_e32 v16, v22, v16
	v_add_f32_e32 v22, v97, v101
	v_add_f32_e32 v52, v24, v28
	v_mul_f32_e32 v29, v83, v61
	v_mul_f32_e32 v37, v23, v61
	;; [unrolled: 1-line block ×5, first 2 shown]
	v_sub_f32_e32 v53, v45, v56
	v_sub_f32_e32 v33, v49, v7
	v_add_f32_e32 v7, v7, v49
	v_add_f32_e32 v45, v56, v45
	v_sub_f32_e32 v49, v96, v102
	v_sub_f32_e32 v56, v97, v101
	;; [unrolled: 1-line block ×3, first 2 shown]
	v_add_f32_e32 v28, v98, v99
	v_add_f32_e32 v57, v27, v20
	v_sub_f32_e32 v58, v99, v98
	v_sub_f32_e32 v20, v20, v27
	v_add_f32_e32 v27, v22, v41
	v_add_f32_e32 v59, v52, v47
	v_fmac_f32_e32 v29, v23, v60
	v_fma_f32 v23, v83, v60, -v37
	v_fmac_f32_e32 v38, v25, v62
	v_fma_f32 v25, v85, v62, -v39
	v_fmac_f32_e32 v44, v21, v66
	v_mul_f32_e32 v21, v21, v67
	v_sub_f32_e32 v60, v22, v41
	v_sub_f32_e32 v61, v52, v47
	;; [unrolled: 1-line block ×5, first 2 shown]
	v_add_f32_e32 v62, v58, v56
	v_add_f32_e32 v63, v20, v24
	v_sub_f32_e32 v64, v58, v56
	v_sub_f32_e32 v65, v20, v24
	;; [unrolled: 1-line block ×4, first 2 shown]
	v_add_f32_e32 v27, v28, v27
	v_add_f32_e32 v28, v57, v59
	v_fma_f32 v21, v87, v66, -v21
	s_waitcnt vmcnt(0)
	v_mul_f32_e32 v37, v80, v69
	v_mul_f32_e32 v39, v89, v71
	v_sub_f32_e32 v52, v57, v52
	v_sub_f32_e32 v58, v49, v58
	;; [unrolled: 1-line block ×3, first 2 shown]
	v_add_f32_e32 v16, v63, v16
	v_add_f32_e32 v13, v13, v27
	;; [unrolled: 1-line block ×3, first 2 shown]
	v_mul_f32_e32 v41, 0x3f4a47b2, v41
	v_mul_f32_e32 v47, 0x3f4a47b2, v47
	;; [unrolled: 1-line block ×7, first 2 shown]
	v_fmac_f32_e32 v37, v14, v68
	v_mul_f32_e32 v14, v14, v69
	v_fmac_f32_e32 v39, v17, v70
	v_mul_f32_e32 v17, v17, v71
	v_add_f32_e32 v49, v62, v49
	v_mul_f32_e32 v62, 0x3d64c772, v52
	v_fmamk_f32 v27, v27, 0xbf955555, v13
	v_fmamk_f32 v28, v28, 0xbf955555, v57
	v_fma_f32 v59, v60, s1, -v59
	v_fma_f32 v60, v60, s2, -v41
	v_fmac_f32_e32 v41, 0x3d64c772, v22
	v_fma_f32 v22, v61, s2, -v47
	v_fmac_f32_e32 v47, 0x3d64c772, v52
	v_fma_f32 v52, v56, s0, -v63
	v_fma_f32 v24, v24, s0, -v64
	v_fmac_f32_e32 v64, 0xbeae86e6, v20
	v_fma_f32 v56, v58, s3, -v65
	v_fma_f32 v20, v20, s3, -v66
	;; [unrolled: 1-line block ×4, first 2 shown]
	v_fmac_f32_e32 v63, 0xbeae86e6, v58
	v_add_f32_e32 v41, v41, v27
	v_add_f32_e32 v58, v59, v27
	;; [unrolled: 1-line block ×4, first 2 shown]
	v_fmac_f32_e32 v64, 0xbee1c552, v16
	v_fmac_f32_e32 v56, 0xbee1c552, v49
	;; [unrolled: 1-line block ×6, first 2 shown]
	v_add_f32_e32 v16, v64, v41
	v_add_f32_e32 v49, v20, v27
	v_sub_f32_e32 v60, v22, v56
	v_sub_f32_e32 v20, v27, v20
	v_add_f32_e32 v22, v56, v22
	v_sub_f32_e32 v27, v41, v64
	v_add_f32_e32 v41, v29, v39
	v_add_f32_e32 v56, v23, v17
	v_sub_f32_e32 v29, v29, v39
	v_sub_f32_e32 v17, v23, v17
	v_add_f32_e32 v23, v38, v37
	v_add_f32_e32 v39, v25, v14
	v_sub_f32_e32 v37, v38, v37
	v_sub_f32_e32 v14, v25, v14
	v_add_f32_e32 v25, v40, v44
	v_add_f32_e32 v38, v18, v21
	v_sub_f32_e32 v40, v44, v40
	v_sub_f32_e32 v18, v21, v18
	v_add_f32_e32 v21, v23, v41
	v_add_f32_e32 v44, v39, v56
	v_fma_f32 v62, v61, s1, -v62
	v_sub_f32_e32 v61, v58, v24
	v_add_f32_e32 v24, v24, v58
	v_sub_f32_e32 v58, v23, v41
	v_sub_f32_e32 v41, v41, v25
	;; [unrolled: 1-line block ×3, first 2 shown]
	v_add_f32_e32 v64, v18, v14
	v_sub_f32_e32 v66, v18, v14
	v_add_f32_e32 v21, v25, v21
	v_add_f32_e32 v25, v38, v44
	;; [unrolled: 1-line block ×4, first 2 shown]
	v_sub_f32_e32 v18, v17, v18
	v_sub_f32_e32 v14, v14, v17
	v_add_f32_e32 v17, v64, v17
	v_add_f32_e32 v0, v0, v21
	;; [unrolled: 1-line block ×3, first 2 shown]
	v_mul_f32_e32 v6, 0x3f4a47b2, v41
	v_mul_f32_e32 v41, 0x3d64c772, v23
	;; [unrolled: 1-line block ×3, first 2 shown]
	v_sub_f32_e32 v28, v47, v63
	v_add_f32_e32 v62, v52, v59
	v_sub_f32_e32 v52, v59, v52
	v_add_f32_e32 v47, v63, v47
	v_sub_f32_e32 v59, v39, v56
	v_sub_f32_e32 v56, v56, v38
	;; [unrolled: 1-line block ×3, first 2 shown]
	v_add_f32_e32 v63, v40, v37
	v_sub_f32_e32 v65, v40, v37
	v_sub_f32_e32 v37, v37, v29
	v_mul_f32_e32 v66, 0xbf5ff5aa, v14
	v_fmamk_f32 v21, v21, 0xbf955555, v0
	v_fma_f32 v41, v58, s1, -v41
	v_fma_f32 v58, v58, s2, -v6
	v_fmac_f32_e32 v6, 0x3d64c772, v23
	v_fma_f32 v14, v14, s0, -v64
	v_fmac_f32_e32 v64, 0xbeae86e6, v18
	v_sub_f32_e32 v40, v29, v40
	v_add_f32_e32 v29, v63, v29
	v_mul_f32_e32 v38, 0x3f4a47b2, v56
	v_mul_f32_e32 v56, 0x3d64c772, v39
	;; [unrolled: 1-line block ×4, first 2 shown]
	v_fma_f32 v18, v18, s3, -v66
	v_add_f32_e32 v6, v6, v21
	v_fmac_f32_e32 v64, 0xbee1c552, v17
	ds_write2_b32 v94, v12, v1 offset1:55
	ds_write2_b32 v94, v26, v33 offset0:110 offset1:165
	ds_write2_b32 v34, v7, v11 offset0:92 offset1:147
	;; [unrolled: 1-line block ×6, first 2 shown]
	v_lshl_add_u32 v7, v8, 2, 0
	v_fmamk_f32 v25, v25, 0xbf955555, v44
	v_fma_f32 v56, v59, s1, -v56
	v_fma_f32 v23, v59, s2, -v38
	v_fmac_f32_e32 v38, 0x3d64c772, v39
	v_fma_f32 v37, v37, s0, -v63
	v_fmac_f32_e32 v63, 0xbeae86e6, v40
	v_fma_f32 v39, v40, s3, -v65
	v_add_f32_e32 v40, v41, v21
	v_add_f32_e32 v21, v58, v21
	v_fmac_f32_e32 v14, 0xbee1c552, v17
	v_fmac_f32_e32 v18, 0xbee1c552, v17
	v_add_f32_e32 v17, v64, v6
	v_add_u32_e32 v16, 0xc00, v7
	v_add_f32_e32 v38, v38, v25
	v_add_f32_e32 v41, v56, v25
	;; [unrolled: 1-line block ×3, first 2 shown]
	v_fmac_f32_e32 v63, 0xbee1c552, v29
	v_fmac_f32_e32 v37, 0xbee1c552, v29
	;; [unrolled: 1-line block ×3, first 2 shown]
	v_add_f32_e32 v25, v18, v21
	v_sub_f32_e32 v58, v40, v14
	v_add_f32_e32 v14, v14, v40
	v_sub_f32_e32 v18, v21, v18
	ds_write2_b32 v16, v0, v17 offset0:2 offset1:57
	ds_write2_b32 v16, v25, v58 offset0:112 offset1:167
	v_add_u32_e32 v17, 0xe00, v7
	v_sub_f32_e32 v29, v38, v63
	v_sub_f32_e32 v56, v23, v39
	v_add_f32_e32 v59, v37, v41
	v_sub_f32_e32 v37, v41, v37
	v_add_f32_e32 v21, v39, v23
	v_sub_f32_e32 v6, v6, v64
	v_add_f32_e32 v23, v63, v38
	ds_write2_b32 v17, v14, v18 offset0:94 offset1:149
	ds_write_b32 v7, v6 offset:4400
	s_waitcnt lgkmcnt(0)
	; wave barrier
	s_waitcnt lgkmcnt(0)
	ds_read2_b32 v[38:39], v94 offset1:55
	ds_read2_b32 v[40:41], v35 offset0:129 offset1:184
	ds_read2_b32 v[0:1], v32 offset0:75 offset1:130
	;; [unrolled: 1-line block ×6, first 2 shown]
	v_add_u32_e32 v6, 0x200, v30
	ds_read2_b32 v[10:11], v6 offset0:92 offset1:147
	ds_read2_b32 v[12:13], v31 offset0:93 offset1:148
	;; [unrolled: 1-line block ×3, first 2 shown]
	ds_read_b32 v6, v30 offset:1320
	s_waitcnt lgkmcnt(0)
	; wave barrier
	s_waitcnt lgkmcnt(0)
	ds_write2_b32 v94, v51, v53 offset1:55
	ds_write2_b32 v94, v54, v55 offset0:110 offset1:165
	ds_write2_b32 v34, v43, v19 offset0:92 offset1:147
	ds_write2_b32 v35, v45, v57 offset0:74 offset1:129
	ds_write2_b32 v35, v28, v60 offset0:184 offset1:239
	ds_write2_b32 v31, v62, v52 offset0:38 offset1:93
	ds_write2_b32 v31, v22, v47 offset0:148 offset1:203
	ds_write2_b32 v16, v44, v29 offset0:2 offset1:57
	ds_write2_b32 v16, v56, v59 offset0:112 offset1:167
	ds_write2_b32 v17, v37, v21 offset0:94 offset1:149
	ds_write_b32 v7, v23 offset:4400
	s_waitcnt lgkmcnt(0)
	; wave barrier
	s_waitcnt lgkmcnt(0)
	s_and_saveexec_b64 s[0:1], vcc
	s_cbranch_execz .LBB0_29
; %bb.28:
	v_mov_b32_e32 v59, 0
	v_lshlrev_b32_e32 v56, 1, v100
	v_mov_b32_e32 v57, v59
	v_lshl_add_u64 v[16:17], v[56:57], 3, s[4:5]
	global_load_dwordx4 v[52:55], v[16:17], off offset:2992
	v_mul_lo_u32 v16, s7, v4
	v_mul_lo_u32 v5, s6, v5
	v_mad_u64_u32 v[60:61], s[0:1], s6, v4, 0
	v_add_u32_e32 v4, 0x1000, v94
	v_add_u32_e32 v17, 0xa00, v94
	;; [unrolled: 1-line block ×7, first 2 shown]
	ds_read_b32 v7, v30 offset:1320
	ds_read2_b32 v[34:35], v94 offset0:110 offset1:165
	ds_read2_b32 v[62:63], v94 offset1:55
	v_add_u32_e32 v30, 0x400, v94
	v_add3_u32 v61, v61, v5, v16
	ds_read2_b32 v[4:5], v4 offset0:21 offset1:76
	ds_read2_b32 v[16:17], v17 offset0:75 offset1:130
	;; [unrolled: 1-line block ×8, first 2 shown]
	v_lshl_add_u64 v[22:23], v[58:59], 3, s[4:5]
	v_add_u32_e32 v58, 0x226, v56
	v_lshl_add_u64 v[30:31], v[58:59], 3, s[4:5]
	v_lshlrev_b32_e32 v58, 1, v42
	v_lshl_add_u64 v[42:43], v[58:59], 3, s[4:5]
	v_lshlrev_b32_e32 v58, 1, v46
	v_lshl_add_u64 v[56:57], v[60:61], 3, s[10:11]
	v_lshl_add_u64 v[46:47], v[58:59], 3, s[4:5]
	v_lshlrev_b32_e32 v58, 1, v48
	v_lshl_add_u64 v[2:3], v[2:3], 3, v[56:57]
	;; [unrolled: 3-line block ×3, first 2 shown]
	global_load_dwordx4 v[48:51], v[48:49], off offset:2992
	s_mov_b32 s1, 0x551c979b
	v_mov_b32_e32 v64, v1
	v_mov_b32_e32 v66, v1
	v_mul_hi_u32 v1, v100, s1
	v_lshrrev_b32_e32 v1, 7, v1
	v_mul_u32_u24_e32 v1, 0x181, v1
	v_sub_u32_e32 v1, v100, v1
	v_mad_u64_u32 v[58:59], s[2:3], s16, v1, 0
	v_add_u32_e32 v65, 0x181, v1
	v_add_u32_e32 v67, 0x302, v1
	v_mov_b32_e32 v68, v38
	v_mov_b32_e32 v38, v59
	v_mad_u64_u32 v[60:61], s[2:3], s16, v65, 0
	v_mad_u64_u32 v[72:73], s[2:3], s16, v67, 0
	;; [unrolled: 1-line block ×3, first 2 shown]
	v_mov_b32_e32 v38, v61
	v_mov_b32_e32 v76, v73
	s_waitcnt lgkmcnt(8)
	v_mov_b32_e32 v69, v62
	s_waitcnt lgkmcnt(6)
	v_mov_b32_e32 v62, v17
	v_mov_b32_e32 v59, v74
	v_mad_u64_u32 v[74:75], s[2:3], s17, v65, v[38:39]
	v_mad_u64_u32 v[76:77], s[2:3], s17, v67, v[76:77]
	v_mov_b32_e32 v61, v74
	v_mov_b32_e32 v73, v76
	s_mov_b32 s0, 0x3f5db3d7
	v_lshl_add_u64 v[58:59], v[58:59], 3, v[2:3]
	v_lshl_add_u64 v[60:61], v[60:61], 3, v[2:3]
	v_add_u32_e32 v1, 55, v100
	v_mul_hi_u32 v17, v1, s1
	v_lshrrev_b32_e32 v17, 7, v17
	v_mul_u32_u24_e32 v38, 0x181, v17
	v_sub_u32_e32 v1, v1, v38
	s_movk_i32 s2, 0x483
	v_mad_u32_u24 v1, v17, s2, v1
	v_add_u32_e32 v17, 0x181, v1
	v_lshl_add_u64 v[72:73], v[72:73], 3, v[2:3]
	s_waitcnt vmcnt(1) lgkmcnt(0)
	v_pk_mul_f32 v[74:75], v[70:71], v[52:53] op_sel_hi:[0,1]
	v_pk_mul_f32 v[76:77], v[62:63], v[54:55] op_sel_hi:[0,1]
	v_pk_fma_f32 v[78:79], v[40:41], v[52:53], v[74:75] op_sel:[0,0,1] op_sel_hi:[1,1,0]
	v_pk_fma_f32 v[52:53], v[40:41], v[52:53], v[74:75] op_sel:[0,0,1] op_sel_hi:[0,1,0] neg_lo:[1,0,0] neg_hi:[1,0,0]
	v_pk_fma_f32 v[64:65], v[64:65], v[54:55], v[76:77] op_sel:[0,0,1] op_sel_hi:[1,1,0]
	v_pk_fma_f32 v[54:55], v[66:67], v[54:55], v[76:77] op_sel:[0,0,1] op_sel_hi:[0,1,0] neg_lo:[1,0,0] neg_hi:[1,0,0]
	v_mov_b32_e32 v79, v53
	v_mov_b32_e32 v65, v55
	v_pk_add_f32 v[52:53], v[78:79], v[64:65]
	v_pk_add_f32 v[54:55], v[78:79], v[64:65] neg_lo:[0,1] neg_hi:[0,1]
	v_pk_fma_f32 v[52:53], v[52:53], 0.5, v[68:69] op_sel_hi:[1,0,1] neg_lo:[1,0,0] neg_hi:[1,0,0]
	v_pk_mul_f32 v[54:55], v[54:55], s[0:1] op_sel_hi:[1,0]
	v_mov_b32_e32 v62, v39
	v_pk_add_f32 v[66:67], v[52:53], v[54:55] op_sel:[0,1] op_sel_hi:[1,0]
	v_pk_add_f32 v[52:53], v[52:53], v[54:55] op_sel:[0,1] op_sel_hi:[1,0] neg_lo:[0,1] neg_hi:[0,1]
	v_pk_add_f32 v[54:55], v[68:69], v[78:79]
	s_nop 0
	v_pk_add_f32 v[54:55], v[54:55], v[64:65]
	global_store_dwordx2 v[58:59], v[54:55], off
	v_mov_b32_e32 v54, v52
	v_mov_b32_e32 v55, v67
	global_store_dwordx2 v[60:61], v[54:55], off
	v_mov_b32_e32 v67, v53
	global_load_dwordx4 v[52:55], v[56:57], off offset:2992
	v_mad_u64_u32 v[56:57], s[4:5], s16, v1, 0
	v_mov_b32_e32 v38, v57
	v_mad_u64_u32 v[58:59], s[4:5], s17, v1, v[38:39]
	v_mov_b32_e32 v57, v58
	;; [unrolled: 2-line block ×3, first 2 shown]
	v_mad_u64_u32 v[60:61], s[4:5], s17, v17, v[38:39]
	v_add_u32_e32 v1, 0x302, v1
	v_mov_b32_e32 v59, v60
	v_mad_u64_u32 v[60:61], s[4:5], s16, v1, 0
	v_mov_b32_e32 v38, v61
	v_mad_u64_u32 v[64:65], s[4:5], s17, v1, v[38:39]
	v_mov_b32_e32 v38, v71
	v_mov_b32_e32 v61, v64
	s_waitcnt vmcnt(3)
	v_pk_mul_f32 v[64:65], v[38:39], v[48:49] op_sel_hi:[0,1]
	v_mov_b32_e32 v38, v41
	global_store_dwordx2 v[72:73], v[66:67], off
	v_pk_fma_f32 v[66:67], v[38:39], v[48:49], v[64:65] op_sel:[0,0,1] op_sel_hi:[1,1,0]
	v_pk_fma_f32 v[40:41], v[38:39], v[48:49], v[64:65] op_sel:[0,0,1] op_sel_hi:[0,1,0] neg_lo:[1,0,0] neg_hi:[1,0,0]
	v_mov_b32_e32 v67, v41
	v_pk_mul_f32 v[40:41], v[44:45], v[50:51] op_sel_hi:[0,1]
	v_pk_fma_f32 v[48:49], v[32:33], v[50:51], v[40:41] op_sel:[0,0,1] op_sel_hi:[1,1,0]
	v_pk_fma_f32 v[40:41], v[32:33], v[50:51], v[40:41] op_sel:[0,0,1] op_sel_hi:[0,1,0] neg_lo:[1,0,0] neg_hi:[1,0,0]
	v_mov_b32_e32 v49, v41
	v_pk_add_f32 v[40:41], v[66:67], v[48:49]
	v_add_u32_e32 v1, 0x6e, v100
	v_pk_fma_f32 v[38:39], v[40:41], 0.5, v[62:63] op_sel_hi:[1,0,1] neg_lo:[1,0,0] neg_hi:[1,0,0]
	v_pk_add_f32 v[40:41], v[66:67], v[48:49] neg_lo:[0,1] neg_hi:[0,1]
	v_lshl_add_u64 v[56:57], v[56:57], 3, v[2:3]
	v_pk_mul_f32 v[40:41], v[40:41], s[0:1] op_sel_hi:[1,0]
	v_mul_hi_u32 v17, v1, s1
	v_pk_add_f32 v[50:51], v[38:39], v[40:41] op_sel:[0,1] op_sel_hi:[1,0]
	v_pk_add_f32 v[38:39], v[38:39], v[40:41] op_sel:[0,1] op_sel_hi:[1,0] neg_lo:[0,1] neg_hi:[0,1]
	v_pk_add_f32 v[40:41], v[62:63], v[66:67]
	v_lshl_add_u64 v[58:59], v[58:59], 3, v[2:3]
	v_pk_add_f32 v[40:41], v[40:41], v[48:49]
	global_store_dwordx2 v[56:57], v[40:41], off
	v_mov_b32_e32 v40, v38
	v_mov_b32_e32 v41, v51
	v_lshrrev_b32_e32 v17, 7, v17
	global_store_dwordx2 v[58:59], v[40:41], off
	v_mov_b32_e32 v51, v39
	v_mul_u32_u24_e32 v32, 0x181, v17
	global_load_dwordx4 v[38:41], v[46:47], off offset:2992
	v_sub_u32_e32 v1, v1, v32
	v_mad_u32_u24 v1, v17, s2, v1
	v_mad_u64_u32 v[48:49], s[4:5], s16, v1, 0
	v_mov_b32_e32 v32, v49
	v_mad_u64_u32 v[46:47], s[4:5], s17, v1, v[32:33]
	v_mov_b32_e32 v49, v46
	v_add_u32_e32 v17, 0x181, v1
	v_lshl_add_u64 v[46:47], v[48:49], 3, v[2:3]
	v_mad_u64_u32 v[48:49], s[4:5], s16, v17, 0
	v_lshl_add_u64 v[60:61], v[60:61], 3, v[2:3]
	v_mov_b32_e32 v32, v49
	global_store_dwordx2 v[60:61], v[50:51], off
	v_mad_u64_u32 v[50:51], s[4:5], s17, v17, v[32:33]
	v_add_u32_e32 v1, 0x302, v1
	v_mov_b32_e32 v49, v50
	v_mad_u64_u32 v[50:51], s[4:5], s16, v1, 0
	v_mov_b32_e32 v32, v51
	v_mad_u64_u32 v[56:57], s[4:5], s17, v1, v[32:33]
	v_mov_b32_e32 v51, v56
	v_lshl_add_u64 v[48:49], v[48:49], 3, v[2:3]
	v_add_u32_e32 v1, 0xa5, v100
	v_mul_hi_u32 v17, v1, s1
	v_lshrrev_b32_e32 v17, 7, v17
	s_waitcnt vmcnt(5)
	v_pk_mul_f32 v[56:57], v[36:37], v[52:53] op_sel_hi:[0,1]
	v_pk_fma_f32 v[58:59], v[26:27], v[52:53], v[56:57] op_sel:[0,0,1] op_sel_hi:[1,1,0]
	v_pk_fma_f32 v[52:53], v[26:27], v[52:53], v[56:57] op_sel:[0,0,1] op_sel_hi:[0,1,0] neg_lo:[1,0,0] neg_hi:[1,0,0]
	v_mov_b32_e32 v26, v45
	v_pk_mul_f32 v[44:45], v[26:27], v[54:55] op_sel_hi:[0,1]
	v_mov_b32_e32 v26, v33
	v_mov_b32_e32 v59, v53
	v_pk_fma_f32 v[52:53], v[26:27], v[54:55], v[44:45] op_sel:[0,0,1] op_sel_hi:[1,1,0]
	v_pk_fma_f32 v[32:33], v[26:27], v[54:55], v[44:45] op_sel:[0,0,1] op_sel_hi:[0,1,0] neg_lo:[1,0,0] neg_hi:[1,0,0]
	v_mov_b32_e32 v53, v33
	v_pk_add_f32 v[32:33], v[58:59], v[52:53]
	v_mov_b32_e32 v44, v24
	v_mov_b32_e32 v45, v34
	v_pk_add_f32 v[54:55], v[58:59], v[52:53] neg_lo:[0,1] neg_hi:[0,1]
	v_pk_fma_f32 v[32:33], v[32:33], 0.5, v[44:45] op_sel_hi:[1,0,1] neg_lo:[1,0,0] neg_hi:[1,0,0]
	v_pk_mul_f32 v[54:55], v[54:55], s[0:1] op_sel_hi:[1,0]
	v_pk_add_f32 v[44:45], v[44:45], v[58:59]
	v_pk_add_f32 v[56:57], v[32:33], v[54:55] op_sel:[0,1] op_sel_hi:[1,0]
	v_pk_add_f32 v[32:33], v[32:33], v[54:55] op_sel:[0,1] op_sel_hi:[1,0] neg_lo:[0,1] neg_hi:[0,1]
	v_pk_add_f32 v[44:45], v[44:45], v[52:53]
	global_store_dwordx2 v[46:47], v[44:45], off
	v_mov_b32_e32 v44, v32
	v_mov_b32_e32 v45, v57
	global_store_dwordx2 v[48:49], v[44:45], off
	global_load_dwordx4 v[42:45], v[42:43], off offset:2992
	v_mul_u32_u24_e32 v24, 0x181, v17
	v_sub_u32_e32 v1, v1, v24
	v_mad_u32_u24 v1, v17, s2, v1
	v_mov_b32_e32 v57, v33
	v_mad_u64_u32 v[32:33], s[4:5], s16, v1, 0
	v_mov_b32_e32 v24, v33
	v_mad_u64_u32 v[46:47], s[4:5], s17, v1, v[24:25]
	v_add_u32_e32 v17, 0x181, v1
	v_mov_b32_e32 v33, v46
	v_mad_u64_u32 v[46:47], s[4:5], s16, v17, 0
	v_mov_b32_e32 v24, v47
	v_mad_u64_u32 v[48:49], s[4:5], s17, v17, v[24:25]
	v_add_u32_e32 v1, 0x302, v1
	v_mov_b32_e32 v47, v48
	v_mad_u64_u32 v[48:49], s[4:5], s16, v1, 0
	v_lshl_add_u64 v[50:51], v[50:51], 3, v[2:3]
	v_mov_b32_e32 v24, v49
	global_store_dwordx2 v[50:51], v[56:57], off
	v_mad_u64_u32 v[50:51], s[4:5], s17, v1, v[24:25]
	v_mov_b32_e32 v24, v37
	s_waitcnt vmcnt(5)
	v_pk_mul_f32 v[36:37], v[24:25], v[38:39] op_sel_hi:[0,1]
	v_mov_b32_e32 v24, v27
	v_mov_b32_e32 v49, v50
	v_pk_fma_f32 v[50:51], v[24:25], v[38:39], v[36:37] op_sel:[0,0,1] op_sel_hi:[1,1,0]
	v_pk_fma_f32 v[26:27], v[24:25], v[38:39], v[36:37] op_sel:[0,0,1] op_sel_hi:[0,1,0] neg_lo:[1,0,0] neg_hi:[1,0,0]
	v_mov_b32_e32 v51, v27
	v_pk_mul_f32 v[26:27], v[28:29], v[40:41] op_sel_hi:[0,1]
	v_pk_fma_f32 v[36:37], v[14:15], v[40:41], v[26:27] op_sel:[0,0,1] op_sel_hi:[1,1,0]
	v_pk_fma_f32 v[26:27], v[14:15], v[40:41], v[26:27] op_sel:[0,0,1] op_sel_hi:[0,1,0] neg_lo:[1,0,0] neg_hi:[1,0,0]
	v_mov_b32_e32 v37, v27
	v_pk_add_f32 v[26:27], v[50:51], v[36:37]
	v_mov_b32_e32 v34, v25
	v_pk_fma_f32 v[24:25], v[26:27], 0.5, v[34:35] op_sel_hi:[1,0,1] neg_lo:[1,0,0] neg_hi:[1,0,0]
	v_pk_add_f32 v[26:27], v[50:51], v[36:37] neg_lo:[0,1] neg_hi:[0,1]
	v_add_u32_e32 v1, 0xdc, v100
	v_pk_mul_f32 v[26:27], v[26:27], s[0:1] op_sel_hi:[1,0]
	v_mul_hi_u32 v14, v1, s1
	v_pk_add_f32 v[38:39], v[24:25], v[26:27] op_sel:[0,1] op_sel_hi:[1,0]
	v_pk_add_f32 v[24:25], v[24:25], v[26:27] op_sel:[0,1] op_sel_hi:[1,0] neg_lo:[0,1] neg_hi:[0,1]
	v_pk_add_f32 v[26:27], v[34:35], v[50:51]
	v_lshrrev_b32_e32 v14, 7, v14
	v_lshl_add_u64 v[32:33], v[32:33], 3, v[2:3]
	v_pk_add_f32 v[26:27], v[26:27], v[36:37]
	v_mul_u32_u24_e32 v17, 0x181, v14
	v_lshl_add_u64 v[46:47], v[46:47], 3, v[2:3]
	global_store_dwordx2 v[32:33], v[26:27], off
	v_mov_b32_e32 v26, v24
	v_mov_b32_e32 v27, v39
	v_sub_u32_e32 v1, v1, v17
	global_store_dwordx2 v[46:47], v[26:27], off
	v_mov_b32_e32 v39, v25
	global_load_dwordx4 v[24:27], v[30:31], off offset:2992
	v_mad_u32_u24 v1, v14, s2, v1
	v_mad_u64_u32 v[32:33], s[4:5], s16, v1, 0
	v_mov_b32_e32 v14, v33
	v_mad_u64_u32 v[30:31], s[4:5], s17, v1, v[14:15]
	v_mov_b32_e32 v33, v30
	v_add_u32_e32 v17, 0x181, v1
	v_lshl_add_u64 v[30:31], v[32:33], 3, v[2:3]
	v_mad_u64_u32 v[32:33], s[4:5], s16, v17, 0
	v_mov_b32_e32 v14, v33
	v_mad_u64_u32 v[34:35], s[4:5], s17, v17, v[14:15]
	v_add_u32_e32 v1, 0x302, v1
	v_mov_b32_e32 v33, v34
	v_mad_u64_u32 v[34:35], s[4:5], s16, v1, 0
	v_mov_b32_e32 v14, v35
	v_mad_u64_u32 v[36:37], s[4:5], s17, v1, v[14:15]
	v_lshl_add_u64 v[48:49], v[48:49], 3, v[2:3]
	v_mov_b32_e32 v35, v36
	s_waitcnt vmcnt(4)
	v_pk_mul_f32 v[36:37], v[20:21], v[42:43] op_sel_hi:[0,1]
	global_store_dwordx2 v[48:49], v[38:39], off
	v_pk_fma_f32 v[38:39], v[12:13], v[42:43], v[36:37] op_sel:[0,0,1] op_sel_hi:[1,1,0]
	v_pk_fma_f32 v[36:37], v[12:13], v[42:43], v[36:37] op_sel:[0,0,1] op_sel_hi:[0,1,0] neg_lo:[1,0,0] neg_hi:[1,0,0]
	v_mov_b32_e32 v12, v29
	v_pk_mul_f32 v[28:29], v[12:13], v[44:45] op_sel_hi:[0,1]
	v_mov_b32_e32 v12, v15
	v_mov_b32_e32 v39, v37
	v_pk_fma_f32 v[36:37], v[12:13], v[44:45], v[28:29] op_sel:[0,0,1] op_sel_hi:[1,1,0]
	v_pk_fma_f32 v[14:15], v[12:13], v[44:45], v[28:29] op_sel:[0,0,1] op_sel_hi:[0,1,0] neg_lo:[1,0,0] neg_hi:[1,0,0]
	v_mov_b32_e32 v37, v15
	v_pk_add_f32 v[14:15], v[38:39], v[36:37]
	v_mov_b32_e32 v28, v10
	v_mov_b32_e32 v29, v18
	v_pk_add_f32 v[40:41], v[38:39], v[36:37] neg_lo:[0,1] neg_hi:[0,1]
	v_pk_fma_f32 v[14:15], v[14:15], 0.5, v[28:29] op_sel_hi:[1,0,1] neg_lo:[1,0,0] neg_hi:[1,0,0]
	v_pk_mul_f32 v[40:41], v[40:41], s[0:1] op_sel_hi:[1,0]
	v_pk_add_f32 v[28:29], v[28:29], v[38:39]
	v_pk_add_f32 v[42:43], v[14:15], v[40:41] op_sel:[0,1] op_sel_hi:[1,0]
	v_pk_add_f32 v[14:15], v[14:15], v[40:41] op_sel:[0,1] op_sel_hi:[1,0] neg_lo:[0,1] neg_hi:[0,1]
	v_pk_add_f32 v[28:29], v[28:29], v[36:37]
	v_lshl_add_u64 v[32:33], v[32:33], 3, v[2:3]
	global_store_dwordx2 v[30:31], v[28:29], off
	v_mov_b32_e32 v28, v14
	v_mov_b32_e32 v29, v43
	global_store_dwordx2 v[32:33], v[28:29], off
	global_load_dwordx4 v[28:31], v[22:23], off offset:2992
	v_add_u32_e32 v1, 0x113, v100
	v_mul_hi_u32 v10, v1, s1
	v_lshrrev_b32_e32 v10, 7, v10
	v_mul_u32_u24_e32 v12, 0x181, v10
	v_sub_u32_e32 v1, v1, v12
	v_mad_u32_u24 v1, v10, s2, v1
	v_mov_b32_e32 v43, v15
	v_mad_u64_u32 v[14:15], s[4:5], s16, v1, 0
	v_mov_b32_e32 v10, v15
	v_mad_u64_u32 v[22:23], s[4:5], s17, v1, v[10:11]
	v_add_u32_e32 v12, 0x181, v1
	v_mov_b32_e32 v15, v22
	v_mad_u64_u32 v[22:23], s[4:5], s16, v12, 0
	v_mov_b32_e32 v10, v23
	v_mad_u64_u32 v[32:33], s[4:5], s17, v12, v[10:11]
	v_add_u32_e32 v1, 0x302, v1
	v_mov_b32_e32 v23, v32
	v_mad_u64_u32 v[32:33], s[4:5], s16, v1, 0
	v_lshl_add_u64 v[34:35], v[34:35], 3, v[2:3]
	v_mov_b32_e32 v10, v33
	global_store_dwordx2 v[34:35], v[42:43], off
	v_mad_u64_u32 v[34:35], s[4:5], s17, v1, v[10:11]
	v_mov_b32_e32 v10, v21
	s_waitcnt vmcnt(5)
	v_pk_mul_f32 v[20:21], v[10:11], v[24:25] op_sel_hi:[0,1]
	v_mov_b32_e32 v10, v13
	v_mov_b32_e32 v33, v34
	v_pk_fma_f32 v[34:35], v[10:11], v[24:25], v[20:21] op_sel:[0,0,1] op_sel_hi:[1,1,0]
	v_pk_fma_f32 v[12:13], v[10:11], v[24:25], v[20:21] op_sel:[0,0,1] op_sel_hi:[0,1,0] neg_lo:[1,0,0] neg_hi:[1,0,0]
	v_mov_b32_e32 v35, v13
	v_pk_mul_f32 v[12:13], v[4:5], v[26:27] op_sel_hi:[0,1]
	v_pk_fma_f32 v[20:21], v[8:9], v[26:27], v[12:13] op_sel:[0,0,1] op_sel_hi:[1,1,0]
	v_pk_fma_f32 v[12:13], v[8:9], v[26:27], v[12:13] op_sel:[0,0,1] op_sel_hi:[0,1,0] neg_lo:[1,0,0] neg_hi:[1,0,0]
	v_mov_b32_e32 v21, v13
	v_add_u32_e32 v1, 0x14a, v100
	v_pk_add_f32 v[12:13], v[34:35], v[20:21]
	v_mov_b32_e32 v18, v11
	v_mul_hi_u32 v4, v1, s1
	v_pk_fma_f32 v[10:11], v[12:13], 0.5, v[18:19] op_sel_hi:[1,0,1] neg_lo:[1,0,0] neg_hi:[1,0,0]
	v_pk_add_f32 v[12:13], v[34:35], v[20:21] neg_lo:[0,1] neg_hi:[0,1]
	v_lshrrev_b32_e32 v4, 7, v4
	v_pk_mul_f32 v[12:13], v[12:13], s[0:1] op_sel_hi:[1,0]
	v_mul_u32_u24_e32 v8, 0x181, v4
	v_pk_add_f32 v[24:25], v[10:11], v[12:13] op_sel:[0,1] op_sel_hi:[1,0]
	v_pk_add_f32 v[10:11], v[10:11], v[12:13] op_sel:[0,1] op_sel_hi:[1,0] neg_lo:[0,1] neg_hi:[0,1]
	v_pk_add_f32 v[12:13], v[18:19], v[34:35]
	v_sub_u32_e32 v1, v1, v8
	v_lshl_add_u64 v[14:15], v[14:15], 3, v[2:3]
	v_pk_add_f32 v[12:13], v[12:13], v[20:21]
	v_mad_u32_u24 v1, v4, s2, v1
	global_store_dwordx2 v[14:15], v[12:13], off
	v_mov_b32_e32 v12, v10
	v_mov_b32_e32 v13, v25
	;; [unrolled: 1-line block ×3, first 2 shown]
	v_mad_u64_u32 v[10:11], s[2:3], s16, v1, 0
	v_lshl_add_u64 v[22:23], v[22:23], 3, v[2:3]
	v_mov_b32_e32 v4, v11
	global_store_dwordx2 v[22:23], v[12:13], off
	v_mad_u64_u32 v[12:13], s[2:3], s17, v1, v[4:5]
	v_add_u32_e32 v8, 0x181, v1
	v_mov_b32_e32 v11, v12
	v_mad_u64_u32 v[12:13], s[2:3], s16, v8, 0
	v_mov_b32_e32 v4, v13
	v_mad_u64_u32 v[14:15], s[2:3], s17, v8, v[4:5]
	v_add_u32_e32 v1, 0x302, v1
	v_mov_b32_e32 v13, v14
	v_mad_u64_u32 v[14:15], s[2:3], s16, v1, 0
	v_mov_b32_e32 v4, v15
	v_mad_u64_u32 v[18:19], s[2:3], s17, v1, v[4:5]
	v_mov_b32_e32 v15, v18
	v_lshl_add_u64 v[32:33], v[32:33], 3, v[2:3]
	v_lshl_add_u64 v[10:11], v[10:11], 3, v[2:3]
	;; [unrolled: 1-line block ×4, first 2 shown]
	s_waitcnt vmcnt(3)
	v_pk_mul_f32 v[14:15], v[16:17], v[28:29] op_sel_hi:[0,1]
	v_pk_fma_f32 v[16:17], v[0:1], v[28:29], v[14:15] op_sel:[0,0,1] op_sel_hi:[1,1,0]
	v_pk_fma_f32 v[0:1], v[0:1], v[28:29], v[14:15] op_sel:[0,0,1] op_sel_hi:[0,1,0] neg_lo:[1,0,0] neg_hi:[1,0,0]
	v_mov_b32_e32 v0, v5
	v_mov_b32_e32 v17, v1
	v_pk_mul_f32 v[0:1], v[0:1], v[30:31] op_sel_hi:[0,1]
	v_mov_b32_e32 v4, v9
	v_mov_b32_e32 v8, v9
	v_pk_fma_f32 v[4:5], v[4:5], v[30:31], v[0:1] op_sel:[0,0,1] op_sel_hi:[1,1,0]
	v_pk_fma_f32 v[0:1], v[8:9], v[30:31], v[0:1] op_sel:[0,0,1] op_sel_hi:[0,1,0] neg_lo:[1,0,0] neg_hi:[1,0,0]
	v_mov_b32_e32 v5, v1
	v_pk_add_f32 v[0:1], v[4:5], v[16:17]
	v_pk_add_f32 v[8:9], v[16:17], v[4:5] neg_lo:[0,1] neg_hi:[0,1]
	v_pk_fma_f32 v[0:1], v[0:1], 0.5, v[6:7] op_sel_hi:[1,0,1] neg_lo:[1,0,0] neg_hi:[1,0,0]
	v_pk_mul_f32 v[8:9], v[8:9], s[0:1] op_sel_hi:[1,0]
	v_pk_add_f32 v[6:7], v[6:7], v[16:17]
	v_pk_add_f32 v[14:15], v[0:1], v[8:9] op_sel:[0,1] op_sel_hi:[1,0]
	v_pk_add_f32 v[0:1], v[0:1], v[8:9] op_sel:[0,1] op_sel_hi:[1,0] neg_lo:[0,1] neg_hi:[0,1]
	v_pk_add_f32 v[4:5], v[4:5], v[6:7]
	global_store_dwordx2 v[32:33], v[24:25], off
	global_store_dwordx2 v[10:11], v[4:5], off
	v_mov_b32_e32 v4, v0
	v_mov_b32_e32 v5, v15
	;; [unrolled: 1-line block ×3, first 2 shown]
	global_store_dwordx2 v[12:13], v[4:5], off
	global_store_dwordx2 v[2:3], v[14:15], off
.LBB0_29:
	s_endpgm
	.section	.rodata,"a",@progbits
	.p2align	6, 0x0
	.amdhsa_kernel fft_rtc_back_len1155_factors_11_5_7_3_wgs_55_tpt_55_halfLds_sp_op_CI_CI_sbrr_dirReg
		.amdhsa_group_segment_fixed_size 0
		.amdhsa_private_segment_fixed_size 0
		.amdhsa_kernarg_size 104
		.amdhsa_user_sgpr_count 2
		.amdhsa_user_sgpr_dispatch_ptr 0
		.amdhsa_user_sgpr_queue_ptr 0
		.amdhsa_user_sgpr_kernarg_segment_ptr 1
		.amdhsa_user_sgpr_dispatch_id 0
		.amdhsa_user_sgpr_kernarg_preload_length 0
		.amdhsa_user_sgpr_kernarg_preload_offset 0
		.amdhsa_user_sgpr_private_segment_size 0
		.amdhsa_uses_dynamic_stack 0
		.amdhsa_enable_private_segment 0
		.amdhsa_system_sgpr_workgroup_id_x 1
		.amdhsa_system_sgpr_workgroup_id_y 0
		.amdhsa_system_sgpr_workgroup_id_z 0
		.amdhsa_system_sgpr_workgroup_info 0
		.amdhsa_system_vgpr_workitem_id 0
		.amdhsa_next_free_vgpr 128
		.amdhsa_next_free_sgpr 54
		.amdhsa_accum_offset 128
		.amdhsa_reserve_vcc 1
		.amdhsa_float_round_mode_32 0
		.amdhsa_float_round_mode_16_64 0
		.amdhsa_float_denorm_mode_32 3
		.amdhsa_float_denorm_mode_16_64 3
		.amdhsa_dx10_clamp 1
		.amdhsa_ieee_mode 1
		.amdhsa_fp16_overflow 0
		.amdhsa_tg_split 0
		.amdhsa_exception_fp_ieee_invalid_op 0
		.amdhsa_exception_fp_denorm_src 0
		.amdhsa_exception_fp_ieee_div_zero 0
		.amdhsa_exception_fp_ieee_overflow 0
		.amdhsa_exception_fp_ieee_underflow 0
		.amdhsa_exception_fp_ieee_inexact 0
		.amdhsa_exception_int_div_zero 0
	.end_amdhsa_kernel
	.text
.Lfunc_end0:
	.size	fft_rtc_back_len1155_factors_11_5_7_3_wgs_55_tpt_55_halfLds_sp_op_CI_CI_sbrr_dirReg, .Lfunc_end0-fft_rtc_back_len1155_factors_11_5_7_3_wgs_55_tpt_55_halfLds_sp_op_CI_CI_sbrr_dirReg
                                        ; -- End function
	.section	.AMDGPU.csdata,"",@progbits
; Kernel info:
; codeLenInByte = 15020
; NumSgprs: 60
; NumVgprs: 128
; NumAgprs: 0
; TotalNumVgprs: 128
; ScratchSize: 0
; MemoryBound: 0
; FloatMode: 240
; IeeeMode: 1
; LDSByteSize: 0 bytes/workgroup (compile time only)
; SGPRBlocks: 7
; VGPRBlocks: 15
; NumSGPRsForWavesPerEU: 60
; NumVGPRsForWavesPerEU: 128
; AccumOffset: 128
; Occupancy: 4
; WaveLimiterHint : 1
; COMPUTE_PGM_RSRC2:SCRATCH_EN: 0
; COMPUTE_PGM_RSRC2:USER_SGPR: 2
; COMPUTE_PGM_RSRC2:TRAP_HANDLER: 0
; COMPUTE_PGM_RSRC2:TGID_X_EN: 1
; COMPUTE_PGM_RSRC2:TGID_Y_EN: 0
; COMPUTE_PGM_RSRC2:TGID_Z_EN: 0
; COMPUTE_PGM_RSRC2:TIDIG_COMP_CNT: 0
; COMPUTE_PGM_RSRC3_GFX90A:ACCUM_OFFSET: 31
; COMPUTE_PGM_RSRC3_GFX90A:TG_SPLIT: 0
	.text
	.p2alignl 6, 3212836864
	.fill 256, 4, 3212836864
	.type	__hip_cuid_98fbf9b5d6cc4d43,@object ; @__hip_cuid_98fbf9b5d6cc4d43
	.section	.bss,"aw",@nobits
	.globl	__hip_cuid_98fbf9b5d6cc4d43
__hip_cuid_98fbf9b5d6cc4d43:
	.byte	0                               ; 0x0
	.size	__hip_cuid_98fbf9b5d6cc4d43, 1

	.ident	"AMD clang version 19.0.0git (https://github.com/RadeonOpenCompute/llvm-project roc-6.4.0 25133 c7fe45cf4b819c5991fe208aaa96edf142730f1d)"
	.section	".note.GNU-stack","",@progbits
	.addrsig
	.addrsig_sym __hip_cuid_98fbf9b5d6cc4d43
	.amdgpu_metadata
---
amdhsa.kernels:
  - .agpr_count:     0
    .args:
      - .actual_access:  read_only
        .address_space:  global
        .offset:         0
        .size:           8
        .value_kind:     global_buffer
      - .offset:         8
        .size:           8
        .value_kind:     by_value
      - .actual_access:  read_only
        .address_space:  global
        .offset:         16
        .size:           8
        .value_kind:     global_buffer
      - .actual_access:  read_only
        .address_space:  global
        .offset:         24
        .size:           8
        .value_kind:     global_buffer
      - .actual_access:  read_only
        .address_space:  global
        .offset:         32
        .size:           8
        .value_kind:     global_buffer
      - .offset:         40
        .size:           8
        .value_kind:     by_value
      - .actual_access:  read_only
        .address_space:  global
        .offset:         48
        .size:           8
        .value_kind:     global_buffer
      - .actual_access:  read_only
        .address_space:  global
        .offset:         56
        .size:           8
        .value_kind:     global_buffer
      - .offset:         64
        .size:           4
        .value_kind:     by_value
      - .actual_access:  read_only
        .address_space:  global
        .offset:         72
        .size:           8
        .value_kind:     global_buffer
      - .actual_access:  read_only
        .address_space:  global
        .offset:         80
        .size:           8
        .value_kind:     global_buffer
      - .actual_access:  read_only
        .address_space:  global
        .offset:         88
        .size:           8
        .value_kind:     global_buffer
      - .actual_access:  write_only
        .address_space:  global
        .offset:         96
        .size:           8
        .value_kind:     global_buffer
    .group_segment_fixed_size: 0
    .kernarg_segment_align: 8
    .kernarg_segment_size: 104
    .language:       OpenCL C
    .language_version:
      - 2
      - 0
    .max_flat_workgroup_size: 55
    .name:           fft_rtc_back_len1155_factors_11_5_7_3_wgs_55_tpt_55_halfLds_sp_op_CI_CI_sbrr_dirReg
    .private_segment_fixed_size: 0
    .sgpr_count:     60
    .sgpr_spill_count: 0
    .symbol:         fft_rtc_back_len1155_factors_11_5_7_3_wgs_55_tpt_55_halfLds_sp_op_CI_CI_sbrr_dirReg.kd
    .uniform_work_group_size: 1
    .uses_dynamic_stack: false
    .vgpr_count:     128
    .vgpr_spill_count: 0
    .wavefront_size: 64
amdhsa.target:   amdgcn-amd-amdhsa--gfx950
amdhsa.version:
  - 1
  - 2
...

	.end_amdgpu_metadata
